;; amdgpu-corpus repo=ROCm/rocFFT kind=compiled arch=gfx950 opt=O3
	.text
	.amdgcn_target "amdgcn-amd-amdhsa--gfx950"
	.amdhsa_code_object_version 6
	.protected	bluestein_single_fwd_len1404_dim1_sp_op_CI_CI ; -- Begin function bluestein_single_fwd_len1404_dim1_sp_op_CI_CI
	.globl	bluestein_single_fwd_len1404_dim1_sp_op_CI_CI
	.p2align	8
	.type	bluestein_single_fwd_len1404_dim1_sp_op_CI_CI,@function
bluestein_single_fwd_len1404_dim1_sp_op_CI_CI: ; @bluestein_single_fwd_len1404_dim1_sp_op_CI_CI
; %bb.0:
	s_load_dwordx4 s[12:15], s[0:1], 0x28
	v_mul_u32_u24_e32 v1, 0x231, v0
	v_mov_b32_e32 v87, 0
	v_add_u32_sdwa v98, s2, v1 dst_sel:DWORD dst_unused:UNUSED_PAD src0_sel:DWORD src1_sel:WORD_1
	v_mov_b32_e32 v99, v87
	s_waitcnt lgkmcnt(0)
	v_cmp_gt_u64_e32 vcc, s[12:13], v[98:99]
	s_and_saveexec_b64 s[2:3], vcc
	s_cbranch_execz .LBB0_10
; %bb.1:
	s_load_dwordx4 s[4:7], s[0:1], 0x18
	s_load_dwordx4 s[8:11], s[0:1], 0x0
	v_mov_b32_e32 v2, s14
	v_mov_b32_e32 v3, s15
	s_movk_i32 s2, 0x75
	s_waitcnt lgkmcnt(0)
	s_load_dwordx4 s[12:15], s[4:5], 0x0
	v_mul_lo_u16_sdwa v1, v1, s2 dst_sel:DWORD dst_unused:UNUSED_PAD src0_sel:WORD_1 src1_sel:DWORD
	v_sub_u16_e32 v86, v0, v1
	v_mov_b32_e32 v28, 0x15f0
	v_lshlrev_b32_e32 v110, 3, v86
	s_waitcnt lgkmcnt(0)
	v_mad_u64_u32 v[0:1], s[2:3], s14, v98, 0
	v_mov_b32_e32 v4, v1
	v_mad_u64_u32 v[4:5], s[2:3], s15, v98, v[4:5]
	v_mov_b32_e32 v1, v4
	v_mad_u64_u32 v[4:5], s[2:3], s12, v86, 0
	v_mov_b32_e32 v6, v5
	v_mad_u64_u32 v[6:7], s[2:3], s13, v86, v[6:7]
	v_mov_b32_e32 v5, v6
	v_lshl_add_u64 v[0:1], v[0:1], 3, v[2:3]
	v_lshl_add_u64 v[0:1], v[4:5], 3, v[0:1]
	global_load_dwordx2 v[2:3], v[0:1], off
	v_mov_b32_e32 v111, v87
	v_mad_u64_u32 v[0:1], s[2:3], s12, v28, v[0:1]
	s_mul_i32 s4, s13, 0x15f0
	v_lshl_add_u64 v[4:5], s[8:9], 0, v[110:111]
	v_add_u32_e32 v1, s4, v1
	s_movk_i32 s2, 0x1000
	v_mov_b32_e32 v26, 0xffffedb8
	global_load_dwordx2 v[6:7], v[0:1], off
	v_add_co_u32_e32 v8, vcc, s2, v4
	v_mad_u64_u32 v[0:1], s[2:3], s12, v26, v[0:1]
	s_mul_i32 s2, s13, 0xffffedb8
	s_sub_i32 s5, s2, s12
	v_add_u32_e32 v1, s5, v1
	v_mad_u64_u32 v[10:11], s[2:3], s12, v28, v[0:1]
	v_add_u32_e32 v11, s4, v11
	v_addc_co_u32_e32 v9, vcc, 0, v5, vcc
	v_mad_u64_u32 v[12:13], s[2:3], s12, v26, v[10:11]
	global_load_dwordx2 v[102:103], v[8:9], off offset:1520
	global_load_dwordx2 v[112:113], v110, s[8:9]
	v_add_u32_e32 v13, s5, v13
	global_load_dwordx2 v[104:105], v110, s[8:9] offset:936
	v_add_u32_e32 v36, 0x400, v110
	global_load_dwordx2 v[0:1], v[0:1], off
	s_nop 0
	global_load_dwordx2 v[14:15], v[10:11], off
	global_load_dwordx2 v[16:17], v[12:13], off
	global_load_dwordx2 v[108:109], v[8:9], off offset:2456
	v_mad_u64_u32 v[10:11], s[2:3], s12, v28, v[12:13]
	v_add_u32_e32 v11, s4, v11
	global_load_dwordx2 v[12:13], v[10:11], off
	global_load_dwordx2 v[94:95], v[8:9], off offset:3392
	global_load_dwordx2 v[106:107], v110, s[8:9] offset:1872
	v_mad_u64_u32 v[10:11], s[2:3], s12, v26, v[10:11]
	v_add_u32_e32 v11, s5, v11
	global_load_dwordx2 v[18:19], v[10:11], off
	global_load_dwordx2 v[96:97], v110, s[8:9] offset:2808
	v_mad_u64_u32 v[10:11], s[2:3], s12, v28, v[10:11]
	v_add_u32_e32 v11, s4, v11
	s_movk_i32 s2, 0x2000
	global_load_dwordx2 v[20:21], v[10:11], off
	v_add_co_u32_e32 v4, vcc, s2, v4
	v_mad_u64_u32 v[10:11], s[2:3], s12, v26, v[10:11]
	s_nop 0
	v_addc_co_u32_e32 v5, vcc, 0, v5, vcc
	v_add_u32_e32 v11, s5, v11
	global_load_dwordx2 v[100:101], v[4:5], off offset:232
	global_load_dwordx2 v[22:23], v[10:11], off
	global_load_dwordx2 v[92:93], v110, s[8:9] offset:3744
	v_mad_u64_u32 v[10:11], s[2:3], s12, v28, v[10:11]
	v_add_u32_e32 v11, s4, v11
	global_load_dwordx2 v[24:25], v[10:11], off
	global_load_dwordx2 v[90:91], v[4:5], off offset:1168
	v_mad_u64_u32 v[10:11], s[2:3], s12, v26, v[10:11]
	v_add_u32_e32 v11, s5, v11
	global_load_dwordx2 v[26:27], v[10:11], off
	global_load_dwordx2 v[88:89], v[8:9], off offset:584
	;; [unrolled: 4-line block ×3, first 2 shown]
	v_add_u32_e32 v37, 0xc00, v110
	v_add_u32_e32 v38, 0x1400, v110
	s_load_dwordx4 s[4:7], s[6:7], 0x0
	v_add_u32_e32 v42, 0x1c00, v110
	v_add_u32_e32 v40, 0x2400, v110
	s_mov_b64 s[2:3], 0x75
	v_lshl_add_u64 v[58:59], v[86:87], 0, s[2:3]
	s_mov_b64 s[2:3], 0xea
	v_lshl_add_u64 v[56:57], v[86:87], 0, s[2:3]
	s_mov_b64 s[2:3], 0x15f
	v_lshl_add_u64 v[60:61], v[86:87], 0, s[2:3]
	v_lshlrev_b32_e32 v39, 1, v86
	v_lshlrev_b32_e32 v99, 4, v86
	v_add_u32_e32 v77, 0x249, v86
	v_lshlrev_b32_e32 v174, 4, v58
	v_lshlrev_b32_e32 v111, 4, v56
	;; [unrolled: 1-line block ×4, first 2 shown]
	s_movk_i32 s2, 0xfc
	v_lshlrev_b32_e32 v61, 1, v58
	v_add_u32_e32 v81, 0x3a8, v39
	v_and_b32_e32 v117, 3, v56
	v_and_b32_e32 v115, 3, v60
	v_mov_b32_e32 v54, 0.5
	s_load_dwordx2 s[12:13], s[0:1], 0x38
	s_movk_i32 s0, 0x6c
	v_cmp_gt_u16_e32 vcc, s0, v86
	s_movk_i32 s0, 0x6b
	v_cmp_lt_u16_e64 s[0:1], s0, v86
	s_waitcnt vmcnt(20)
	v_mul_f32_e32 v4, v3, v113
	v_fmac_f32_e32 v4, v2, v112
	v_mul_f32_e32 v2, v2, v113
	v_fma_f32 v5, v3, v112, -v2
	v_mul_f32_e32 v2, v7, v103
	v_mul_f32_e32 v3, v6, v103
	v_fmac_f32_e32 v2, v6, v102
	v_fma_f32 v3, v7, v102, -v3
	ds_write_b64 v110, v[2:3] offset:5616
	s_waitcnt vmcnt(18)
	v_mul_f32_e32 v2, v1, v105
	v_fmac_f32_e32 v2, v0, v104
	v_mul_f32_e32 v0, v0, v105
	v_fma_f32 v3, v1, v104, -v0
	ds_write2_b64 v110, v[4:5], v[2:3] offset1:117
	s_waitcnt vmcnt(15)
	v_mul_f32_e32 v0, v15, v109
	v_mul_f32_e32 v1, v14, v109
	s_waitcnt vmcnt(13)
	v_mul_f32_e32 v4, v13, v95
	v_mul_f32_e32 v5, v12, v95
	v_fmac_f32_e32 v0, v14, v108
	v_fma_f32 v1, v15, v108, -v1
	v_fmac_f32_e32 v4, v12, v94
	v_fma_f32 v5, v13, v94, -v5
	v_add_u32_e32 v6, 0x1800, v110
	s_waitcnt vmcnt(12)
	v_mul_f32_e32 v2, v17, v107
	v_mul_f32_e32 v3, v16, v107
	ds_write2_b64 v6, v[0:1], v[4:5] offset0:51 offset1:168
	s_waitcnt vmcnt(10)
	v_mul_f32_e32 v0, v19, v97
	v_mul_f32_e32 v1, v18, v97
	v_fmac_f32_e32 v2, v16, v106
	v_fma_f32 v3, v17, v106, -v3
	v_fmac_f32_e32 v0, v18, v96
	v_fma_f32 v1, v19, v96, -v1
	ds_write2_b64 v36, v[2:3], v[0:1] offset0:106 offset1:223
	s_waitcnt vmcnt(8)
	v_mul_f32_e32 v0, v21, v101
	v_mul_f32_e32 v1, v20, v101
	s_waitcnt vmcnt(4)
	v_mul_f32_e32 v4, v25, v91
	v_mul_f32_e32 v5, v24, v91
	v_fmac_f32_e32 v0, v20, v100
	v_fma_f32 v1, v21, v100, -v1
	v_fmac_f32_e32 v4, v24, v90
	v_fma_f32 v5, v25, v90, -v5
	v_add_u32_e32 v6, 0x2000, v110
	v_mul_f32_e32 v2, v23, v93
	v_mul_f32_e32 v3, v22, v93
	ds_write2_b64 v6, v[0:1], v[4:5] offset0:29 offset1:146
	s_waitcnt vmcnt(2)
	v_mul_f32_e32 v0, v27, v89
	v_mul_f32_e32 v1, v26, v89
	v_fmac_f32_e32 v2, v22, v92
	v_fma_f32 v3, v23, v92, -v3
	v_fmac_f32_e32 v0, v26, v88
	v_fma_f32 v1, v27, v88, -v1
	ds_write2_b64 v37, v[2:3], v[0:1] offset0:84 offset1:201
	s_waitcnt vmcnt(0)
	v_mul_f32_e32 v0, v11, v85
	v_mul_f32_e32 v1, v10, v85
	v_fmac_f32_e32 v0, v10, v84
	v_fma_f32 v1, v11, v84, -v1
	ds_write_b64 v110, v[0:1] offset:10296
	s_waitcnt lgkmcnt(0)
	s_barrier
	ds_read2_b64 v[0:3], v110 offset1:117
	ds_read2_b64 v[4:7], v38 offset0:62 offset1:179
	ds_read2_b64 v[12:15], v36 offset0:106 offset1:223
	;; [unrolled: 1-line block ×5, first 2 shown]
	s_waitcnt lgkmcnt(4)
	v_pk_add_f32 v[10:11], v[0:1], v[4:5] neg_lo:[0,1] neg_hi:[0,1]
	v_pk_add_f32 v[4:5], v[2:3], v[6:7] neg_lo:[0,1] neg_hi:[0,1]
	v_pk_fma_f32 v[8:9], v[0:1], 2.0, v[10:11] op_sel_hi:[1,0,1] neg_lo:[0,0,1] neg_hi:[0,0,1]
	s_waitcnt lgkmcnt(2)
	v_pk_add_f32 v[22:23], v[12:13], v[16:17] neg_lo:[0,1] neg_hi:[0,1]
	v_pk_add_f32 v[16:17], v[14:15], v[18:19] neg_lo:[0,1] neg_hi:[0,1]
	s_waitcnt lgkmcnt(0)
	v_pk_add_f32 v[34:35], v[24:25], v[28:29] neg_lo:[0,1] neg_hi:[0,1]
	v_pk_add_f32 v[28:29], v[26:27], v[30:31] neg_lo:[0,1] neg_hi:[0,1]
	v_and_b32_e32 v0, 1, v60
	v_pk_fma_f32 v[2:3], v[2:3], 2.0, v[4:5] op_sel_hi:[1,0,1] neg_lo:[0,0,1] neg_hi:[0,0,1]
	v_pk_fma_f32 v[20:21], v[12:13], 2.0, v[22:23] op_sel_hi:[1,0,1] neg_lo:[0,0,1] neg_hi:[0,0,1]
	;; [unrolled: 1-line block ×5, first 2 shown]
	s_barrier
	ds_write_b128 v99, v[8:11]
	ds_write_b128 v174, v[2:5]
	;; [unrolled: 1-line block ×4, first 2 shown]
	ds_write_b128 v57, v[32:35] offset:7488
	ds_write_b128 v99, v[26:29] offset:9360
	v_lshlrev_b32_e32 v1, 3, v0
	v_and_b32_e32 v4, 1, v77
	s_waitcnt lgkmcnt(0)
	s_barrier
	global_load_dwordx2 v[78:79], v1, s[10:11]
	v_lshlrev_b32_e32 v1, 3, v4
	global_load_dword v82, v1, s[10:11] offset:4
	global_load_dwordx2 v[74:75], v1, s[10:11]
	v_and_b32_e32 v1, 1, v86
	v_lshlrev_b32_e32 v2, 3, v1
	global_load_dwordx2 v[72:73], v2, s[10:11]
	v_and_b32_e32 v2, 1, v58
	v_lshlrev_b32_e32 v3, 3, v2
	global_load_dword v76, v3, s[10:11]
	v_and_or_b32 v7, v39, s2, v1
	s_movk_i32 s2, 0x1fc
	v_lshlrev_b32_e32 v3, 1, v56
	v_lshlrev_b32_e32 v5, 1, v60
	v_and_or_b32 v2, v61, s2, v2
	s_movk_i32 s2, 0x3fc
	v_lshlrev_b32_e32 v177, 3, v2
	v_and_or_b32 v2, v3, s2, v1
	v_and_or_b32 v0, v5, s2, v0
	s_movk_i32 s2, 0x7fc
	v_lshlrev_b32_e32 v179, 3, v0
	v_and_or_b32 v0, v81, s2, v1
	v_lshlrev_b32_e32 v178, 3, v2
	v_lshlrev_b32_e32 v180, 3, v0
	ds_read2_b64 v[0:3], v40 offset0:18 offset1:135
	v_lshlrev_b32_e32 v6, 1, v77
	s_movk_i32 s2, 0x5fc
	v_and_or_b32 v4, v6, s2, v4
	v_lshlrev_b32_e32 v176, 3, v7
	v_lshlrev_b32_e32 v181, 3, v4
	ds_read2_b64 v[4:7], v37 offset0:84 offset1:201
	s_mov_b32 s2, 0x3f5db3d7
	s_waitcnt vmcnt(4)
	v_mov_b32_e32 v80, v79
	s_waitcnt vmcnt(3) lgkmcnt(1)
	v_pk_mul_f32 v[8:9], v[2:3], v[82:83] op_sel_hi:[1,0]
	v_and_b32_e32 v83, 3, v58
	s_waitcnt vmcnt(2)
	v_pk_fma_f32 v[10:11], v[2:3], v[74:75], v[8:9] op_sel:[0,0,1] op_sel_hi:[1,1,0] neg_lo:[0,0,1] neg_hi:[0,0,1]
	v_pk_fma_f32 v[2:3], v[2:3], v[74:75], v[8:9] op_sel:[0,0,1] op_sel_hi:[1,0,0]
	s_nop 0
	v_mov_b32_e32 v11, v3
	s_waitcnt lgkmcnt(0)
	v_pk_add_f32 v[8:9], v[6:7], v[10:11] neg_lo:[0,1] neg_hi:[0,1]
	s_waitcnt vmcnt(1)
	v_pk_mul_f32 v[2:3], v[0:1], v[72:73] op_sel:[0,1]
	v_pk_fma_f32 v[10:11], v[6:7], 2.0, v[8:9] op_sel_hi:[1,0,1] neg_lo:[0,0,1] neg_hi:[0,0,1]
	v_pk_fma_f32 v[6:7], v[0:1], v[72:73], v[2:3] op_sel:[0,0,1] op_sel_hi:[1,1,0] neg_lo:[0,0,1] neg_hi:[0,0,1]
	v_pk_fma_f32 v[12:13], v[0:1], v[72:73], v[2:3] op_sel:[0,0,1] op_sel_hi:[1,0,0]
	ds_read2_b64 v[0:3], v42 offset0:40 offset1:157
	v_mov_b32_e32 v7, v13
	v_pk_add_f32 v[12:13], v[4:5], v[6:7] neg_lo:[0,1] neg_hi:[0,1]
	s_waitcnt lgkmcnt(0)
	v_pk_mul_f32 v[16:17], v[2:3], v[80:81] op_sel_hi:[1,0]
	v_pk_fma_f32 v[14:15], v[4:5], 2.0, v[12:13] op_sel_hi:[1,0,1] neg_lo:[0,0,1] neg_hi:[0,0,1]
	ds_read2_b64 v[4:7], v36 offset0:106 offset1:223
	v_pk_fma_f32 v[18:19], v[2:3], v[78:79], v[16:17] op_sel:[0,0,1] op_sel_hi:[1,1,0] neg_lo:[0,0,1] neg_hi:[0,0,1]
	v_pk_fma_f32 v[2:3], v[2:3], v[78:79], v[16:17] op_sel:[0,0,1] op_sel_hi:[1,0,0]
	v_and_b32_e32 v79, 3, v86
	v_mov_b32_e32 v19, v3
	s_waitcnt lgkmcnt(0)
	v_pk_add_f32 v[16:17], v[6:7], v[18:19] neg_lo:[0,1] neg_hi:[0,1]
	v_pk_mul_f32 v[2:3], v[0:1], v[72:73] op_sel:[0,1]
	v_pk_fma_f32 v[18:19], v[6:7], 2.0, v[16:17] op_sel_hi:[1,0,1] neg_lo:[0,0,1] neg_hi:[0,0,1]
	v_pk_fma_f32 v[6:7], v[0:1], v[72:73], v[2:3] op_sel:[0,0,1] op_sel_hi:[1,1,0] neg_lo:[0,0,1] neg_hi:[0,0,1]
	v_pk_fma_f32 v[20:21], v[0:1], v[72:73], v[2:3] op_sel:[0,0,1] op_sel_hi:[1,0,0]
	ds_read2_b64 v[0:3], v38 offset0:62 offset1:179
	v_mov_b32_e32 v7, v21
	v_pk_add_f32 v[20:21], v[4:5], v[6:7] neg_lo:[0,1] neg_hi:[0,1]
	s_waitcnt lgkmcnt(0)
	v_pk_mul_f32 v[24:25], v[2:3], v[74:75] op_sel:[0,1]
	v_pk_fma_f32 v[22:23], v[4:5], 2.0, v[20:21] op_sel_hi:[1,0,1] neg_lo:[0,0,1] neg_hi:[0,0,1]
	ds_read2_b64 v[4:7], v110 offset1:117
	s_waitcnt vmcnt(0)
	v_pk_fma_f32 v[26:27], v[2:3], v[76:77], v[24:25] op_sel:[0,0,1] op_sel_hi:[1,1,0] neg_lo:[0,0,1] neg_hi:[0,0,1]
	v_pk_fma_f32 v[2:3], v[2:3], v[76:77], v[24:25] op_sel:[0,0,1] op_sel_hi:[1,0,0]
	v_pk_mul_f32 v[24:25], v[0:1], v[72:73] op_sel:[0,1]
	v_mov_b32_e32 v27, v3
	s_waitcnt lgkmcnt(0)
	v_pk_add_f32 v[2:3], v[6:7], v[26:27] neg_lo:[0,1] neg_hi:[0,1]
	v_pk_fma_f32 v[26:27], v[0:1], v[72:73], v[24:25] op_sel:[0,0,1] op_sel_hi:[1,1,0] neg_lo:[0,0,1] neg_hi:[0,0,1]
	v_pk_fma_f32 v[0:1], v[0:1], v[72:73], v[24:25] op_sel:[0,0,1] op_sel_hi:[1,0,0]
	v_pk_fma_f32 v[6:7], v[6:7], 2.0, v[2:3] op_sel_hi:[1,0,1] neg_lo:[0,0,1] neg_hi:[0,0,1]
	v_mov_b32_e32 v27, v1
	v_pk_add_f32 v[0:1], v[4:5], v[26:27] neg_lo:[0,1] neg_hi:[0,1]
	s_nop 0
	v_pk_fma_f32 v[4:5], v[4:5], 2.0, v[0:1] op_sel_hi:[1,0,1] neg_lo:[0,0,1] neg_hi:[0,0,1]
	s_barrier
	ds_write2_b64 v176, v[4:5], v[0:1] offset1:2
	ds_write2_b64 v177, v[6:7], v[2:3] offset1:2
	;; [unrolled: 1-line block ×6, first 2 shown]
	v_lshlrev_b32_e32 v0, 4, v79
	v_lshlrev_b32_e32 v12, 4, v117
	s_waitcnt lgkmcnt(0)
	s_barrier
	global_load_dwordx4 v[8:11], v0, s[10:11] offset:16
	s_nop 0
	global_load_dwordx4 v[12:15], v12, s[10:11] offset:16
	v_lshlrev_b32_e32 v0, 4, v83
	global_load_dwordx4 v[4:7], v0, s[10:11] offset:16
	v_lshlrev_b32_e32 v0, 4, v115
	global_load_dwordx4 v[0:3], v0, s[10:11] offset:16
	ds_read2_b64 v[16:19], v37 offset0:84 offset1:201
	ds_read2_b64 v[20:23], v110 offset1:117
	ds_read2_b64 v[24:27], v36 offset0:106 offset1:223
	ds_read2_b64 v[28:31], v38 offset0:62 offset1:179
	;; [unrolled: 1-line block ×4, first 2 shown]
	s_waitcnt lgkmcnt(0)
	s_barrier
	s_waitcnt vmcnt(3)
	v_mov_b32_e32 v114, v11
	v_mov_b32_e32 v116, v8
	v_pk_mul_f32 v[48:49], v[16:17], v[8:9] op_sel:[0,1]
	s_waitcnt vmcnt(2)
	v_mov_b32_e32 v55, v15
	s_waitcnt vmcnt(1)
	v_mov_b32_e32 v11, v4
	v_pk_mul_f32 v[40:41], v[18:19], v[10:11] op_sel:[1,0] op_sel_hi:[0,1]
	v_pk_mul_f32 v[42:43], v[18:19], v[4:5]
	v_pk_mul_f32 v[44:45], v[18:19], v[4:5] op_sel:[1,0] op_sel_hi:[0,1]
	v_mov_b32_e32 v40, v45
	v_mov_b32_e32 v42, v7
	v_pk_fma_f32 v[18:19], v[18:19], v[4:5], v[40:41] op_sel:[1,0,0] op_sel_hi:[0,1,1]
	v_mov_b32_e32 v40, v39
	v_pk_mul_f32 v[46:47], v[38:39], v[42:43]
	v_pk_mul_f32 v[44:45], v[38:39], v[6:7]
	v_pk_fma_f32 v[46:47], v[40:41], v[6:7], v[46:47]
	v_pk_fma_f32 v[50:51], v[16:17], v[116:117], v[48:49] op_sel:[0,0,1] op_sel_hi:[1,1,0] neg_lo:[0,0,1] neg_hi:[0,0,1]
	v_pk_fma_f32 v[16:17], v[16:17], v[8:9], v[48:49] op_sel:[0,0,1] op_sel_hi:[1,0,0]
	v_mov_b32_e32 v8, v45
	v_mov_b32_e32 v19, v41
	;; [unrolled: 1-line block ×3, first 2 shown]
	v_pk_fma_f32 v[38:39], v[38:39], v[6:7], v[8:9] neg_lo:[0,0,1] neg_hi:[0,0,1]
	v_pk_add_f32 v[40:41], v[18:19], v[46:47] neg_lo:[0,1] neg_hi:[0,1]
	v_mul_f32_e32 v42, v28, v13
	v_add_f32_e32 v8, v41, v38
	v_fma_f32 v16, -0.5, v8, v22
	v_add_f32_e32 v8, v18, v46
	v_pk_mul_f32 v[48:49], v[36:37], v[114:115] op_sel_hi:[1,0]
	v_mov_b32_e32 v19, v22
	v_mov_b32_e32 v22, v25
	v_mul_f32_e32 v43, 0.5, v8
	v_fmac_f32_e32 v42, v29, v12
	v_pk_fma_f32 v[52:53], v[36:37], v[10:11], v[48:49] op_sel:[0,0,1] op_sel_hi:[1,1,0] neg_lo:[0,0,1] neg_hi:[0,0,1]
	v_pk_fma_f32 v[36:37], v[36:37], v[10:11], v[48:49] op_sel:[0,0,1] op_sel_hi:[1,0,0]
	v_pk_add_f32 v[48:49], v[22:23], v[42:43] neg_lo:[0,1] neg_hi:[0,1]
	s_waitcnt vmcnt(0)
	v_mov_b32_e32 v11, v2
	v_mul_f32_e32 v48, v32, v15
	v_pk_mul_f32 v[44:45], v[34:35], v[10:11] op_sel:[1,0] op_sel_hi:[0,1]
	v_mul_f32_e32 v8, v32, v14
	v_fmac_f32_e32 v48, v33, v14
	v_mov_b32_e32 v25, v45
	v_add_f32_e32 v36, v23, v18
	v_pk_add_f32 v[44:45], v[22:23], v[42:43]
	v_mov_b32_e32 v23, v8
	v_add_f32_e32 v32, v42, v48
	v_mul_f32_e32 v8, v29, v13
	v_fma_f32 v29, v28, v12, -v8
	v_pk_fma_f32 v[22:23], v[32:33], v[54:55], v[22:23] neg_lo:[1,0,0] neg_hi:[1,0,0]
	v_pk_mul_f32 v[62:63], v[34:35], v[2:3] op_sel:[1,0] op_sel_hi:[0,1]
	v_add_f32_e32 v34, v29, v23
	v_mov_b32_e32 v55, v3
	v_mov_b32_e32 v11, v0
	v_pk_fma_f32 v[32:33], v[34:35], v[54:55], v[24:25] neg_lo:[1,0,0] neg_hi:[1,0,0]
	v_pk_mul_f32 v[34:35], v[30:31], v[10:11] op_sel:[1,0] op_sel_hi:[0,1]
	v_pk_mul_f32 v[68:69], v[30:31], v[0:1]
	v_pk_mul_f32 v[30:31], v[30:31], v[0:1] op_sel:[1,0] op_sel_hi:[0,1]
	v_mov_b32_e32 v54, v30
	v_mov_b32_e32 v55, v62
	;; [unrolled: 1-line block ×5, first 2 shown]
	v_pk_add_f32 v[30:31], v[54:55], v[62:63]
	v_pk_add_f32 v[54:55], v[50:51], v[52:53]
	v_mov_b32_e32 v18, 0x3f5db3d7
	v_pk_fma_f32 v[70:71], -0.5, v[54:55], v[20:21] op_sel_hi:[0,1,1]
	v_pk_mul_f32 v[118:119], v[40:41], s[2:3]
	v_pk_add_f32 v[54:55], v[18:19], v[40:41]
	v_sub_f32_e32 v8, v41, v38
	v_mov_b32_e32 v119, v55
	v_mov_b32_e32 v17, v38
	v_pk_add_f32 v[64:65], v[118:119], v[16:17]
	v_mul_f32_e32 v119, 0x3f5db3d7, v8
	v_mov_b32_e32 v45, v49
	v_sub_f32_e32 v28, v29, v23
	v_mov_b32_e32 v19, v24
	v_mov_b32_e32 v17, v49
	;; [unrolled: 1-line block ×3, first 2 shown]
	v_pk_mul_f32 v[24:25], v[28:29], s[2:3]
	v_pk_add_f32 v[28:29], v[18:19], v[28:29]
	v_mov_b32_e32 v43, v35
	v_pk_add_f32 v[66:67], v[44:45], v[48:49]
	v_mov_b32_e32 v49, v69
	v_mov_b32_e32 v25, v29
	v_pk_add_f32 v[28:29], v[42:43], v[48:49] neg_lo:[0,1] neg_hi:[0,1]
	v_pk_add_f32 v[62:63], v[24:25], v[22:23]
	v_add_f32_e32 v8, v29, v33
	v_fma_f32 v23, -0.5, v8, v26
	v_sub_f32_e32 v8, v30, v31
	v_mov_b32_e32 v44, v23
	v_mul_f32_e32 v25, 0x3f5db3d7, v8
	v_fmac_f32_e32 v44, 0x3f5db3d7, v8
	v_add_f32_e32 v8, v30, v31
	v_mov_b32_e32 v19, v26
	v_add_f32_e32 v26, v27, v30
	v_fmac_f32_e32 v27, -0.5, v8
	v_sub_f32_e32 v8, v29, v33
	v_pk_add_f32 v[20:21], v[20:21], v[50:51]
	v_pk_add_f32 v[38:39], v[50:51], v[52:53] neg_lo:[0,1] neg_hi:[0,1]
	v_pk_add_f32 v[50:51], v[16:17], v[118:119] neg_lo:[0,1] neg_hi:[0,1]
	v_mul_f32_e32 v16, 0x3f5db3d7, v8
	v_lshrrev_b32_e32 v8, 2, v86
	v_mul_u32_u24_e32 v8, 12, v8
	v_or_b32_e32 v8, v8, v79
	v_lshlrev_b32_e32 v184, 3, v8
	v_lshrrev_b32_e32 v8, 2, v58
	v_pk_mul_f32 v[38:39], v[38:39], s[2:3] op_sel_hi:[1,0]
	v_mul_u32_u24_e32 v8, 12, v8
	v_mov_b32_e32 v37, v38
	v_mov_b32_e32 v47, v71
	v_pk_mul_f32 v[34:35], v[28:29], s[2:3]
	v_pk_add_f32 v[18:19], v[18:19], v[28:29]
	v_or_b32_e32 v8, v8, v83
	v_pk_add_f32 v[54:55], v[36:37], v[46:47]
	v_mov_b32_e32 v35, v19
	v_pk_add_f32 v[40:41], v[20:21], v[52:53]
	v_pk_add_f32 v[52:53], v[70:71], v[38:39] op_sel:[0,1] op_sel_hi:[1,0] neg_lo:[0,1] neg_hi:[0,1]
	v_mov_b32_e32 v17, v34
	v_mov_b32_e32 v19, v32
	v_mov_b32_e32 v18, v27
	v_lshlrev_b32_e32 v185, 3, v8
	v_lshrrev_b32_e32 v8, 2, v56
	v_pk_add_f32 v[42:43], v[38:39], v[70:71] op_sel:[1,0] op_sel_hi:[0,1]
	v_pk_add_f32 v[46:47], v[18:19], v[16:17] neg_lo:[0,1] neg_hi:[0,1]
	v_mov_b32_e32 v18, v31
	v_mov_b32_e32 v19, v16
	;; [unrolled: 1-line block ×4, first 2 shown]
	v_mul_u32_u24_e32 v8, 12, v8
	v_pk_add_f32 v[118:119], v[26:27], v[18:19]
	v_mov_b32_e32 v43, v53
	ds_write_b64 v184, v[16:17] offset:64
	v_mov_b32_e32 v16, v65
	v_mov_b32_e32 v17, v54
	;; [unrolled: 1-line block ×4, first 2 shown]
	v_or_b32_e32 v8, v8, v117
	v_pk_add_f32 v[68:69], v[22:23], v[24:25] neg_lo:[0,1] neg_hi:[0,1]
	v_pk_add_f32 v[70:71], v[34:35], v[32:33]
	ds_write2_b64 v184, v[40:41], v[42:43] offset1:4
	ds_write2_b64 v185, v[16:17], v[18:19] offset1:4
	v_mov_b32_e32 v16, v50
	v_mov_b32_e32 v17, v67
	v_lshlrev_b32_e32 v186, 3, v8
	v_lshrrev_b32_e32 v8, 2, v60
	ds_write_b64 v185, v[16:17] offset:64
	v_mov_b32_e32 v16, v63
	v_mov_b32_e32 v17, v66
	;; [unrolled: 1-line block ×4, first 2 shown]
	v_mul_u32_u24_e32 v8, 12, v8
	ds_write2_b64 v186, v[16:17], v[18:19] offset1:4
	v_mov_b32_e32 v16, v47
	v_mov_b32_e32 v17, v62
	v_or_b32_e32 v8, v8, v115
	ds_write_b64 v186, v[16:17] offset:64
	v_lshlrev_b32_e32 v187, 3, v8
	v_mov_b32_e32 v16, v71
	v_mov_b32_e32 v17, v118
	;; [unrolled: 1-line block ×3, first 2 shown]
	ds_write2_b64 v187, v[16:17], v[44:45] offset1:4
	v_mov_b32_e32 v16, v69
	v_mov_b32_e32 v17, v119
	ds_write_b64 v187, v[16:17] offset:64
	s_waitcnt lgkmcnt(0)
	s_barrier
	s_and_saveexec_b64 s[2:3], s[0:1]
	s_xor_b64 s[2:3], exec, s[2:3]
	s_or_saveexec_b64 s[2:3], s[2:3]
                                        ; implicit-def: $vgpr120
                                        ; implicit-def: $vgpr8
	s_xor_b64 exec, exec, s[2:3]
	s_cbranch_execz .LBB0_3
; %bb.2:
	v_add_u32_e32 v8, 0x400, v110
	ds_read2_b64 v[52:55], v8 offset0:88 offset1:196
	v_add_u32_e32 v8, 0xc00, v110
	ds_read2_b64 v[48:51], v8 offset0:48 offset1:156
	;; [unrolled: 2-line block ×4, first 2 shown]
	v_add_u32_e32 v8, 0x2000, v110
	ds_read2_b64 v[40:43], v110 offset1:108
	ds_read2_b64 v[44:47], v8 offset0:56 offset1:164
	ds_read_b64 v[120:121], v110 offset:10368
	s_waitcnt lgkmcnt(4)
	v_mov_b32_e32 v70, v18
	s_waitcnt lgkmcnt(3)
	v_mov_b32_e32 v71, v22
	v_mov_b32_e32 v118, v23
	s_waitcnt lgkmcnt(1)
	v_mov_b32_e32 v119, v47
	v_mov_b32_e32 v62, v21
	;; [unrolled: 1-line block ×15, first 2 shown]
	s_waitcnt lgkmcnt(0)
	v_mov_b32_e32 v8, v121
.LBB0_3:
	s_or_b64 exec, exec, s[2:3]
	s_movk_i32 s2, 0xab
	v_mul_lo_u16_sdwa v11, v86, s2 dst_sel:DWORD dst_unused:UNUSED_PAD src0_sel:BYTE_0 src1_sel:DWORD
	v_lshrrev_b16_e32 v182, 11, v11
	v_mul_lo_u16_e32 v11, 12, v182
	v_sub_u16_e32 v11, v86, v11
	v_and_b32_e32 v183, 0xff, v11
	s_movk_i32 s2, 0x60
	v_mov_b64_e32 v[16:17], s[10:11]
	v_mad_u64_u32 v[48:49], s[2:3], v183, s2, v[16:17]
	global_load_dwordx4 v[20:23], v[48:49], off offset:80
	global_load_dwordx4 v[16:19], v[48:49], off offset:96
	;; [unrolled: 1-line block ×6, first 2 shown]
	s_mov_b32 s20, 0xbeedf032
	s_mov_b32 s16, 0x3f62ad3f
	;; [unrolled: 1-line block ×12, first 2 shown]
	v_mov_b32_e32 v83, v82
	v_mov_b32_e32 v79, v78
	;; [unrolled: 1-line block ×5, first 2 shown]
	s_barrier
	s_waitcnt vmcnt(5)
	v_pk_mul_f32 v[48:49], v[52:53], v[20:21] op_sel:[1,0]
	v_pk_mul_f32 v[122:123], v[54:55], v[22:23] op_sel:[1,0]
	s_waitcnt vmcnt(4)
	v_pk_mul_f32 v[54:55], v[54:55], v[16:17] op_sel_hi:[0,1]
	v_pk_mul_f32 v[130:131], v[50:51], v[18:19] op_sel:[1,0]
	s_waitcnt vmcnt(3)
	v_pk_mul_f32 v[134:135], v[66:67], v[26:27] op_sel_hi:[0,1]
	s_waitcnt vmcnt(2)
	v_pk_mul_f32 v[136:137], v[68:69], v[28:29] op_sel_hi:[0,1]
	;; [unrolled: 2-line block ×3, first 2 shown]
	s_waitcnt vmcnt(0)
	v_pk_mul_f32 v[118:119], v[118:119], v[36:37] op_sel:[1,0]
	v_pk_mul_f32 v[144:145], v[8:9], v[38:39] op_sel_hi:[0,1]
	v_pk_mul_f32 v[132:133], v[66:67], v[24:25] op_sel:[1,0]
	v_pk_mul_f32 v[138:139], v[62:63], v[30:31] op_sel_hi:[0,1]
	v_pk_fma_f32 v[126:127], v[42:43], v[20:21], v[48:49] op_sel:[0,0,1] op_sel_hi:[1,1,0] neg_lo:[0,0,1] neg_hi:[0,0,1]
	v_pk_fma_f32 v[42:43], v[42:43], v[20:21], v[48:49] op_sel:[0,0,1] op_sel_hi:[0,1,0]
	v_pk_fma_f32 v[66:67], v[52:53], v[22:23], v[122:123] op_sel:[0,0,1] op_sel_hi:[1,1,0] neg_lo:[0,0,1] neg_hi:[0,0,1]
	v_pk_fma_f32 v[48:49], v[52:53], v[22:23], v[122:123] op_sel:[0,0,1] op_sel_hi:[0,1,0]
	;; [unrolled: 2-line block ×8, first 2 shown]
	v_mov_b32_e32 v127, v43
	v_mov_b32_e32 v69, v121
	v_pk_mul_f32 v[142:143], v[46:47], v[34:35] op_sel_hi:[0,1]
	v_pk_fma_f32 v[64:65], v[50:51], v[24:25], v[132:133] op_sel:[0,0,1] op_sel_hi:[1,1,0] neg_lo:[0,0,1] neg_hi:[0,0,1]
	v_pk_fma_f32 v[50:51], v[50:51], v[24:25], v[132:133] op_sel:[0,0,1] op_sel_hi:[0,1,0]
	v_mov_b32_e32 v67, v49
	v_mov_b32_e32 v137, v119
	v_pk_add_f32 v[154:155], v[126:127], v[68:69] neg_lo:[0,1] neg_hi:[0,1]
	v_pk_fma_f32 v[132:133], v[46:47], v[30:31], v[138:139] op_sel:[1,0,1] op_sel_hi:[1,1,0] neg_lo:[0,0,1] neg_hi:[0,0,1]
	v_pk_fma_f32 v[46:47], v[46:47], v[30:31], v[138:139] op_sel:[1,0,1] op_sel_hi:[1,1,0]
	v_pk_fma_f32 v[134:135], v[70:71], v[32:33], v[140:141] op_sel:[1,0,1] op_sel_hi:[1,1,0] neg_lo:[0,0,1] neg_hi:[0,0,1]
	v_pk_fma_f32 v[138:139], v[70:71], v[32:33], v[140:141] op_sel:[1,0,1] op_sel_hi:[1,1,0]
	;; [unrolled: 2-line block ×3, first 2 shown]
	v_mov_b32_e32 v65, v51
	v_pk_add_f32 v[48:49], v[126:127], v[68:69]
	v_pk_add_f32 v[156:157], v[66:67], v[136:137] neg_lo:[0,1] neg_hi:[0,1]
	v_pk_mul_f32 v[50:51], v[154:155], s[20:21] op_sel:[1,0] op_sel_hi:[0,0]
	v_mov_b32_e32 v125, v53
	v_mov_b32_e32 v63, v147
	;; [unrolled: 1-line block ×4, first 2 shown]
	v_pk_add_f32 v[46:47], v[66:67], v[136:137]
	v_pk_mul_f32 v[52:53], v[156:157], s[22:23] op_sel:[1,0] op_sel_hi:[0,0]
	v_pk_fma_f32 v[146:147], v[48:49], s[16:17], v[50:51] op_sel_hi:[1,0,1]
	v_pk_fma_f32 v[148:149], v[48:49], s[16:17], v[50:51] op_sel_hi:[1,0,1] neg_lo:[0,0,1] neg_hi:[0,0,1]
	v_mov_b32_e32 v129, v55
	v_mov_b32_e32 v135, v139
	v_pk_add_f32 v[158:159], v[124:125], v[70:71] neg_lo:[0,1] neg_hi:[0,1]
	v_pk_fma_f32 v[142:143], v[46:47], s[2:3], v[52:53] op_sel_hi:[1,0,1]
	v_pk_fma_f32 v[144:145], v[46:47], s[2:3], v[52:53] op_sel_hi:[1,0,1] neg_lo:[0,0,1] neg_hi:[0,0,1]
	v_mov_b32_e32 v50, v146
	v_mov_b32_e32 v51, v149
	v_pk_add_f32 v[44:45], v[124:125], v[70:71]
	v_pk_add_f32 v[160:161], v[128:129], v[134:135] neg_lo:[0,1] neg_hi:[0,1]
	v_pk_mul_f32 v[54:55], v[158:159], s[24:25] op_sel:[1,0] op_sel_hi:[0,0]
	v_mov_b32_e32 v52, v142
	v_mov_b32_e32 v53, v145
	v_pk_add_f32 v[50:51], v[40:41], v[50:51]
	v_pk_add_f32 v[42:43], v[128:129], v[134:135]
	v_pk_fma_f32 v[138:139], v[44:45], s[14:15], v[54:55] op_sel_hi:[1,0,1]
	v_pk_fma_f32 v[140:141], v[44:45], s[14:15], v[54:55] op_sel_hi:[1,0,1] neg_lo:[0,0,1] neg_hi:[0,0,1]
	v_pk_add_f32 v[50:51], v[52:53], v[50:51]
	v_pk_mul_f32 v[52:53], v[160:161], s[26:27] op_sel:[1,0] op_sel_hi:[0,0]
	v_mov_b32_e32 v54, v138
	v_mov_b32_e32 v55, v141
	v_pk_fma_f32 v[150:151], v[42:43], s[18:19], v[52:53] op_sel_hi:[1,0,1]
	v_pk_fma_f32 v[152:153], v[42:43], s[18:19], v[52:53] op_sel_hi:[1,0,1] neg_lo:[0,0,1] neg_hi:[0,0,1]
	v_pk_add_f32 v[50:51], v[54:55], v[50:51]
	v_mov_b32_e32 v52, v150
	v_mov_b32_e32 v53, v153
	v_pk_add_f32 v[170:171], v[64:65], v[132:133] neg_lo:[0,1] neg_hi:[0,1]
	v_pk_add_f32 v[52:53], v[52:53], v[50:51]
	v_pk_add_f32 v[50:51], v[64:65], v[132:133]
	v_pk_mul_f32 v[54:55], v[170:171], s[30:31] op_sel:[1,0] op_sel_hi:[0,0]
	v_mov_b32_e32 v131, v123
	v_pk_fma_f32 v[162:163], v[50:51], s[28:29], v[54:55] op_sel_hi:[1,0,1]
	v_pk_fma_f32 v[164:165], v[50:51], s[28:29], v[54:55] op_sel_hi:[1,0,1] neg_lo:[0,0,1] neg_hi:[0,0,1]
	v_mov_b32_e32 v54, v162
	v_mov_b32_e32 v55, v165
	v_pk_add_f32 v[172:173], v[130:131], v[62:63] neg_lo:[0,1] neg_hi:[0,1]
	v_pk_add_f32 v[52:53], v[54:55], v[52:53]
	v_pk_add_f32 v[54:55], v[130:131], v[62:63]
	v_pk_mul_f32 v[118:119], v[172:173], s[36:37] op_sel:[1,0] op_sel_hi:[0,0]
	v_pk_fma_f32 v[166:167], v[54:55], s[34:35], v[118:119] op_sel_hi:[1,0,1]
	v_pk_fma_f32 v[168:169], v[54:55], s[34:35], v[118:119] op_sel_hi:[1,0,1] neg_lo:[0,0,1] neg_hi:[0,0,1]
	v_mov_b32_e32 v118, v166
	v_mov_b32_e32 v119, v169
	v_pk_add_f32 v[118:119], v[118:119], v[52:53]
	v_lshlrev_b32_e32 v142, 3, v81
	v_lshlrev_b32_e32 v138, 4, v77
	v_mov_b32_e32 v122, v74
	v_mov_b32_e32 v123, v74
	;; [unrolled: 1-line block ×10, first 2 shown]
	s_and_saveexec_b64 s[20:21], vcc
	s_cbranch_execz .LBB0_5
; %bb.4:
	v_pk_add_f32 v[126:127], v[40:41], v[126:127]
	v_mov_b32_e32 v149, v147
	v_pk_add_f32 v[66:67], v[126:127], v[66:67]
	v_mov_b32_e32 v145, v143
	;; [unrolled: 2-line block ×5, first 2 shown]
	v_pk_add_f32 v[64:65], v[64:65], v[130:131]
	v_mul_u32_u24_e32 v52, 0x9c, v182
	v_pk_add_f32 v[62:63], v[64:65], v[62:63]
	v_pk_add_f32 v[64:65], v[40:41], v[148:149]
	;; [unrolled: 1-line block ×10, first 2 shown]
	v_mov_b32_e32 v169, v167
	v_mov_b32_e32 v188, v155
	;; [unrolled: 1-line block ×3, first 2 shown]
	v_add_lshl_u32 v52, v52, v183, 3
	v_pk_add_f32 v[62:63], v[62:63], v[68:69]
	v_pk_add_f32 v[64:65], v[168:169], v[64:65]
	ds_write2_b64 v52, v[62:63], v[64:65] offset1:12
	v_pk_mul_f32 v[64:65], v[188:189], s[22:23] op_sel_hi:[1,0]
	v_mov_b32_e32 v154, v157
	v_mov_b32_e32 v155, v156
	v_pk_fma_f32 v[62:63], v[48:49], s[2:3], v[64:65] op_sel_hi:[1,0,1] neg_lo:[0,0,1] neg_hi:[0,0,1]
	v_pk_fma_f32 v[64:65], v[48:49], s[2:3], v[64:65] op_sel_hi:[1,0,1]
	v_mov_b32_e32 v66, v62
	v_mov_b32_e32 v67, v65
	v_pk_mul_f32 v[68:69], v[154:155], s[26:27] op_sel_hi:[1,0]
	v_pk_add_f32 v[70:71], v[40:41], v[66:67]
	v_pk_fma_f32 v[66:67], v[46:47], s[18:19], v[68:69] op_sel_hi:[1,0,1] neg_lo:[0,0,1] neg_hi:[0,0,1]
	v_pk_fma_f32 v[68:69], v[46:47], s[18:19], v[68:69] op_sel_hi:[1,0,1]
	v_mov_b32_e32 v156, v159
	v_mov_b32_e32 v157, v158
	;; [unrolled: 1-line block ×4, first 2 shown]
	v_pk_add_f32 v[126:127], v[124:125], v[70:71]
	v_pk_mul_f32 v[124:125], v[156:157], s[36:37] op_sel_hi:[1,0]
	v_mov_b32_e32 v158, v161
	v_pk_fma_f32 v[70:71], v[44:45], s[34:35], v[124:125] op_sel_hi:[1,0,1] neg_lo:[0,0,1] neg_hi:[0,0,1]
	v_pk_fma_f32 v[124:125], v[44:45], s[34:35], v[124:125] op_sel_hi:[1,0,1]
	v_mov_b32_e32 v159, v160
	v_mov_b32_e32 v128, v70
	v_mov_b32_e32 v129, v125
	s_mov_b32 s42, 0x3f29c268
	v_pk_add_f32 v[130:131], v[128:129], v[126:127]
	v_pk_mul_f32 v[128:129], v[158:159], s[42:43] op_sel_hi:[1,0]
	v_mov_b32_e32 v160, v171
	v_pk_fma_f32 v[126:127], v[42:43], s[28:29], v[128:129] op_sel_hi:[1,0,1] neg_lo:[0,0,1] neg_hi:[0,0,1]
	v_pk_fma_f32 v[128:129], v[42:43], s[28:29], v[128:129] op_sel_hi:[1,0,1]
	v_mov_b32_e32 v161, v170
	v_mov_b32_e32 v132, v126
	v_mov_b32_e32 v133, v129
	s_mov_b32 s38, 0x3f7e222b
	;; [unrolled: 9-line block ×3, first 2 shown]
	v_pk_add_f32 v[130:131], v[136:137], v[130:131]
	v_pk_mul_f32 v[136:137], v[170:171], s[40:41] op_sel_hi:[1,0]
	v_pk_mul_f32 v[146:147], v[154:155], s[36:37] op_sel_hi:[1,0]
	v_pk_fma_f32 v[140:141], v[54:55], s[16:17], v[136:137] op_sel_hi:[1,0,1] neg_lo:[0,0,1] neg_hi:[0,0,1]
	v_pk_fma_f32 v[136:137], v[54:55], s[16:17], v[136:137] op_sel_hi:[1,0,1]
	v_mov_b32_e32 v144, v140
	v_mov_b32_e32 v145, v137
	v_pk_add_f32 v[130:131], v[144:145], v[130:131]
	v_pk_mul_f32 v[144:145], v[188:189], s[24:25] op_sel_hi:[1,0]
	s_mov_b32 s44, 0x3f6f5d39
	v_pk_fma_f32 v[164:165], v[48:49], s[14:15], v[144:145] op_sel_hi:[1,0,1] neg_lo:[0,0,1] neg_hi:[0,0,1]
	v_pk_fma_f32 v[144:145], v[48:49], s[14:15], v[144:145] op_sel_hi:[1,0,1]
	v_mov_b32_e32 v166, v164
	v_mov_b32_e32 v167, v145
	v_pk_fma_f32 v[168:169], v[46:47], s[34:35], v[146:147] op_sel_hi:[1,0,1] neg_lo:[0,0,1] neg_hi:[0,0,1]
	v_pk_fma_f32 v[146:147], v[46:47], s[34:35], v[146:147] op_sel_hi:[1,0,1]
	v_pk_mul_f32 v[148:149], v[156:157], s[44:45] op_sel_hi:[1,0]
	v_pk_add_f32 v[166:167], v[40:41], v[166:167]
	v_mov_b32_e32 v172, v168
	v_mov_b32_e32 v173, v147
	v_pk_add_f32 v[166:167], v[172:173], v[166:167]
	v_pk_fma_f32 v[172:173], v[44:45], s[18:19], v[148:149] op_sel_hi:[1,0,1] neg_lo:[0,0,1] neg_hi:[0,0,1]
	v_pk_fma_f32 v[148:149], v[44:45], s[18:19], v[148:149] op_sel_hi:[1,0,1]
	v_pk_mul_f32 v[150:151], v[158:159], s[40:41] op_sel_hi:[1,0]
	v_mov_b32_e32 v190, v172
	v_mov_b32_e32 v191, v149
	v_pk_add_f32 v[166:167], v[190:191], v[166:167]
	v_pk_fma_f32 v[190:191], v[42:43], s[16:17], v[150:151] op_sel_hi:[1,0,1] neg_lo:[0,0,1] neg_hi:[0,0,1]
	v_pk_fma_f32 v[150:151], v[42:43], s[16:17], v[150:151] op_sel_hi:[1,0,1]
	v_pk_mul_f32 v[152:153], v[160:161], s[22:23] op_sel_hi:[1,0]
	v_mov_b32_e32 v192, v190
	v_mov_b32_e32 v193, v151
	v_pk_add_f32 v[166:167], v[192:193], v[166:167]
	v_pk_fma_f32 v[192:193], v[50:51], s[2:3], v[152:153] op_sel_hi:[1,0,1] neg_lo:[0,0,1] neg_hi:[0,0,1]
	v_pk_fma_f32 v[152:153], v[50:51], s[2:3], v[152:153] op_sel_hi:[1,0,1]
	v_pk_mul_f32 v[162:163], v[170:171], s[30:31] op_sel_hi:[1,0]
	v_mov_b32_e32 v194, v192
	v_mov_b32_e32 v195, v153
	v_pk_add_f32 v[166:167], v[194:195], v[166:167]
	v_pk_fma_f32 v[194:195], v[54:55], s[28:29], v[162:163] op_sel_hi:[1,0,1] neg_lo:[0,0,1] neg_hi:[0,0,1]
	v_pk_fma_f32 v[162:163], v[54:55], s[28:29], v[162:163] op_sel_hi:[1,0,1]
	v_mov_b32_e32 v196, v194
	v_mov_b32_e32 v197, v163
	v_pk_add_f32 v[166:167], v[196:197], v[166:167]
	ds_write2_b64 v52, v[130:131], v[166:167] offset0:24 offset1:36
	v_pk_mul_f32 v[130:131], v[188:189], s[26:27] op_sel_hi:[1,0]
	v_pk_mul_f32 v[198:199], v[154:155], s[42:43] op_sel_hi:[1,0]
	v_pk_fma_f32 v[166:167], v[48:49], s[18:19], v[130:131] op_sel_hi:[1,0,1] neg_lo:[0,0,1] neg_hi:[0,0,1]
	v_pk_fma_f32 v[130:131], v[48:49], s[18:19], v[130:131] op_sel_hi:[1,0,1]
	v_mov_b32_e32 v196, v166
	v_mov_b32_e32 v197, v131
	v_pk_fma_f32 v[200:201], v[46:47], s[28:29], v[198:199] op_sel_hi:[1,0,1] neg_lo:[0,0,1] neg_hi:[0,0,1]
	v_pk_fma_f32 v[198:199], v[46:47], s[28:29], v[198:199] op_sel_hi:[1,0,1]
	v_pk_add_f32 v[196:197], v[40:41], v[196:197]
	v_mov_b32_e32 v202, v200
	v_mov_b32_e32 v203, v199
	v_pk_add_f32 v[196:197], v[202:203], v[196:197]
	v_pk_mul_f32 v[202:203], v[156:157], s[40:41] op_sel_hi:[1,0]
	s_mov_b32 s42, 0x3f52af12
	v_pk_fma_f32 v[204:205], v[44:45], s[16:17], v[202:203] op_sel_hi:[1,0,1] neg_lo:[0,0,1] neg_hi:[0,0,1]
	v_pk_fma_f32 v[202:203], v[44:45], s[16:17], v[202:203] op_sel_hi:[1,0,1]
	v_mov_b32_e32 v206, v204
	v_mov_b32_e32 v207, v203
	v_pk_add_f32 v[196:197], v[206:207], v[196:197]
	v_pk_mul_f32 v[206:207], v[158:159], s[24:25] op_sel_hi:[1,0]
	s_mov_b32 s24, 0x3e750f2a
	v_pk_fma_f32 v[208:209], v[42:43], s[14:15], v[206:207] op_sel_hi:[1,0,1] neg_lo:[0,0,1] neg_hi:[0,0,1]
	v_pk_fma_f32 v[206:207], v[42:43], s[14:15], v[206:207] op_sel_hi:[1,0,1]
	v_mov_b32_e32 v210, v208
	v_mov_b32_e32 v211, v207
	v_pk_add_f32 v[196:197], v[210:211], v[196:197]
	v_pk_mul_f32 v[210:211], v[160:161], s[24:25] op_sel_hi:[1,0]
	v_pk_mul_f32 v[220:221], v[154:155], s[38:39] op_sel_hi:[1,0]
	v_pk_fma_f32 v[212:213], v[50:51], s[34:35], v[210:211] op_sel_hi:[1,0,1] neg_lo:[0,0,1] neg_hi:[0,0,1]
	v_pk_fma_f32 v[210:211], v[50:51], s[34:35], v[210:211] op_sel_hi:[1,0,1]
	v_mov_b32_e32 v214, v212
	v_mov_b32_e32 v215, v211
	v_pk_add_f32 v[196:197], v[214:215], v[196:197]
	v_pk_mul_f32 v[214:215], v[170:171], s[42:43] op_sel_hi:[1,0]
	v_pk_fma_f32 v[234:235], v[46:47], s[14:15], v[220:221] op_sel_hi:[1,0,1] neg_lo:[0,0,1] neg_hi:[0,0,1]
	v_pk_fma_f32 v[216:217], v[54:55], s[2:3], v[214:215] op_sel_hi:[1,0,1] neg_lo:[0,0,1] neg_hi:[0,0,1]
	v_pk_fma_f32 v[214:215], v[54:55], s[2:3], v[214:215] op_sel_hi:[1,0,1]
	v_mov_b32_e32 v218, v216
	v_mov_b32_e32 v219, v215
	v_pk_add_f32 v[196:197], v[218:219], v[196:197]
	v_pk_mul_f32 v[218:219], v[188:189], s[30:31] op_sel_hi:[1,0]
	v_pk_fma_f32 v[220:221], v[46:47], s[14:15], v[220:221] op_sel_hi:[1,0,1]
	v_pk_fma_f32 v[230:231], v[48:49], s[28:29], v[218:219] op_sel_hi:[1,0,1] neg_lo:[0,0,1] neg_hi:[0,0,1]
	v_pk_fma_f32 v[218:219], v[48:49], s[28:29], v[218:219] op_sel_hi:[1,0,1]
	v_mov_b32_e32 v232, v230
	v_mov_b32_e32 v233, v219
	v_pk_mul_f32 v[222:223], v[156:157], s[22:23] op_sel_hi:[1,0]
	v_pk_add_f32 v[232:233], v[40:41], v[232:233]
	v_mov_b32_e32 v236, v234
	v_mov_b32_e32 v237, v221
	v_pk_add_f32 v[232:233], v[236:237], v[232:233]
	v_pk_fma_f32 v[236:237], v[44:45], s[2:3], v[222:223] op_sel_hi:[1,0,1] neg_lo:[0,0,1] neg_hi:[0,0,1]
	v_pk_fma_f32 v[222:223], v[44:45], s[2:3], v[222:223] op_sel_hi:[1,0,1]
	v_pk_mul_f32 v[224:225], v[158:159], s[24:25] op_sel_hi:[1,0]
	v_mov_b32_e32 v238, v236
	v_mov_b32_e32 v239, v223
	v_pk_add_f32 v[232:233], v[238:239], v[232:233]
	v_pk_fma_f32 v[238:239], v[42:43], s[34:35], v[224:225] op_sel_hi:[1,0,1] neg_lo:[0,0,1] neg_hi:[0,0,1]
	v_pk_fma_f32 v[224:225], v[42:43], s[34:35], v[224:225] op_sel_hi:[1,0,1]
	v_pk_mul_f32 v[226:227], v[160:161], s[40:41] op_sel_hi:[1,0]
	;; [unrolled: 6-line block ×3, first 2 shown]
	v_mov_b32_e32 v242, v240
	v_mov_b32_e32 v243, v227
	v_pk_add_f32 v[232:233], v[242:243], v[232:233]
	v_pk_fma_f32 v[242:243], v[54:55], s[18:19], v[228:229] op_sel_hi:[1,0,1] neg_lo:[0,0,1] neg_hi:[0,0,1]
	v_pk_fma_f32 v[228:229], v[54:55], s[18:19], v[228:229] op_sel_hi:[1,0,1]
	v_mov_b32_e32 v244, v242
	v_mov_b32_e32 v245, v229
	v_pk_add_f32 v[232:233], v[244:245], v[232:233]
	v_pk_mul_f32 v[188:189], v[188:189], s[36:37] op_sel_hi:[1,0]
	ds_write2_b64 v52, v[196:197], v[232:233] offset0:48 offset1:60
	v_pk_fma_f32 v[196:197], v[48:49], s[34:35], v[188:189] op_sel_hi:[1,0,1] neg_lo:[0,0,1] neg_hi:[0,0,1]
	v_pk_fma_f32 v[48:49], v[48:49], s[34:35], v[188:189] op_sel_hi:[1,0,1]
	v_pk_mul_f32 v[154:155], v[154:155], s[40:41] op_sel_hi:[1,0]
	v_mov_b32_e32 v188, v196
	v_mov_b32_e32 v189, v49
	v_pk_fma_f32 v[232:233], v[46:47], s[16:17], v[154:155] op_sel_hi:[1,0,1] neg_lo:[0,0,1] neg_hi:[0,0,1]
	v_pk_fma_f32 v[46:47], v[46:47], s[16:17], v[154:155] op_sel_hi:[1,0,1]
	v_pk_add_f32 v[188:189], v[40:41], v[188:189]
	v_mov_b32_e32 v154, v232
	v_mov_b32_e32 v155, v47
	v_pk_mul_f32 v[156:157], v[156:157], s[30:31] op_sel_hi:[1,0]
	v_pk_add_f32 v[154:155], v[154:155], v[188:189]
	v_pk_fma_f32 v[188:189], v[44:45], s[28:29], v[156:157] op_sel_hi:[1,0,1] neg_lo:[0,0,1] neg_hi:[0,0,1]
	v_pk_fma_f32 v[44:45], v[44:45], s[28:29], v[156:157] op_sel_hi:[1,0,1]
	v_mov_b32_e32 v156, v188
	v_mov_b32_e32 v157, v45
	v_pk_add_f32 v[154:155], v[156:157], v[154:155]
	v_pk_mul_f32 v[156:157], v[158:159], s[42:43] op_sel_hi:[1,0]
	v_mov_b32_e32 v49, v197
	v_pk_fma_f32 v[158:159], v[42:43], s[2:3], v[156:157] op_sel_hi:[1,0,1] neg_lo:[0,0,1] neg_hi:[0,0,1]
	v_pk_fma_f32 v[42:43], v[42:43], s[2:3], v[156:157] op_sel_hi:[1,0,1]
	v_mov_b32_e32 v156, v158
	v_mov_b32_e32 v157, v43
	v_pk_add_f32 v[154:155], v[156:157], v[154:155]
	v_pk_mul_f32 v[156:157], v[160:161], s[26:27] op_sel_hi:[1,0]
	v_pk_add_f32 v[48:49], v[40:41], v[48:49]
	v_pk_fma_f32 v[160:161], v[50:51], s[18:19], v[156:157] op_sel_hi:[1,0,1] neg_lo:[0,0,1] neg_hi:[0,0,1]
	v_pk_fma_f32 v[50:51], v[50:51], s[18:19], v[156:157] op_sel_hi:[1,0,1]
	v_mov_b32_e32 v47, v233
	v_mov_b32_e32 v156, v160
	;; [unrolled: 1-line block ×3, first 2 shown]
	v_pk_add_f32 v[46:47], v[46:47], v[48:49]
	v_mov_b32_e32 v45, v189
	v_pk_add_f32 v[154:155], v[156:157], v[154:155]
	v_pk_mul_f32 v[156:157], v[170:171], s[38:39] op_sel_hi:[1,0]
	v_pk_add_f32 v[44:45], v[44:45], v[46:47]
	v_mov_b32_e32 v43, v159
	v_pk_fma_f32 v[170:171], v[54:55], s[14:15], v[156:157] op_sel_hi:[1,0,1] neg_lo:[0,0,1] neg_hi:[0,0,1]
	v_pk_fma_f32 v[54:55], v[54:55], s[14:15], v[156:157] op_sel_hi:[1,0,1]
	v_pk_add_f32 v[42:43], v[42:43], v[44:45]
	v_mov_b32_e32 v51, v161
	v_mov_b32_e32 v156, v170
	;; [unrolled: 1-line block ×3, first 2 shown]
	v_pk_add_f32 v[42:43], v[50:51], v[42:43]
	v_mov_b32_e32 v55, v171
	v_pk_add_f32 v[154:155], v[156:157], v[154:155]
	v_pk_add_f32 v[42:43], v[54:55], v[42:43]
	v_mov_b32_e32 v219, v231
	v_mov_b32_e32 v131, v167
	ds_write2_b64 v52, v[154:155], v[42:43] offset0:72 offset1:84
	v_pk_add_f32 v[42:43], v[40:41], v[218:219]
	v_mov_b32_e32 v221, v235
	v_pk_add_f32 v[44:45], v[40:41], v[130:131]
	v_mov_b32_e32 v199, v201
	;; [unrolled: 2-line block ×10, first 2 shown]
	v_pk_add_f32 v[42:43], v[228:229], v[42:43]
	v_pk_add_f32 v[44:45], v[214:215], v[44:45]
	v_mov_b32_e32 v145, v165
	v_mov_b32_e32 v65, v63
	ds_write2_b64 v52, v[42:43], v[44:45] offset0:96 offset1:108
	v_pk_add_f32 v[42:43], v[40:41], v[144:145]
	v_mov_b32_e32 v147, v169
	v_pk_add_f32 v[40:41], v[40:41], v[64:65]
	v_mov_b32_e32 v69, v67
	v_pk_add_f32 v[42:43], v[146:147], v[42:43]
	v_mov_b32_e32 v149, v173
	v_pk_add_f32 v[40:41], v[68:69], v[40:41]
	v_mov_b32_e32 v125, v71
	v_pk_add_f32 v[42:43], v[148:149], v[42:43]
	v_mov_b32_e32 v151, v191
	v_pk_add_f32 v[40:41], v[124:125], v[40:41]
	v_mov_b32_e32 v129, v127
	v_pk_add_f32 v[42:43], v[150:151], v[42:43]
	v_mov_b32_e32 v153, v193
	v_pk_add_f32 v[40:41], v[128:129], v[40:41]
	v_mov_b32_e32 v133, v135
	v_pk_add_f32 v[42:43], v[152:153], v[42:43]
	v_mov_b32_e32 v163, v195
	v_pk_add_f32 v[40:41], v[132:133], v[40:41]
	v_mov_b32_e32 v137, v141
	v_pk_add_f32 v[42:43], v[162:163], v[42:43]
	v_pk_add_f32 v[40:41], v[136:137], v[40:41]
	ds_write2_b64 v52, v[42:43], v[40:41] offset0:120 offset1:132
	ds_write_b64 v52, v[118:119] offset:1152
.LBB0_5:
	s_or_b64 exec, exec, s[20:21]
	s_movk_i32 s2, 0xffd9
	s_mov_b32 s3, -1
	v_lshl_add_u64 v[40:41], v[86:87], 0, s[2:3]
	v_cmp_gt_u16_e64 s[2:3], 39, v86
	s_waitcnt lgkmcnt(0)
	s_barrier
	v_cndmask_b32_e64 v59, v41, v59, s[2:3]
	v_cndmask_b32_e64 v58, v40, v58, s[2:3]
	v_lshl_add_u64 v[44:45], v[58:59], 4, s[10:11]
	global_load_dwordx4 v[48:51], v57, s[10:11] offset:1232
	global_load_dwordx4 v[40:43], v[44:45], off offset:1232
	v_lshrrev_b16_e32 v44, 2, v56
	v_mul_u32_u24_e32 v44, 0xd21, v44
	v_lshrrev_b16_e32 v46, 2, v60
	v_lshrrev_b32_e32 v59, 17, v44
	v_mul_u32_u24_e32 v46, 0xd21, v46
	v_mul_lo_u16_e32 v44, 0x9c, v59
	v_lshrrev_b32_e32 v46, 17, v46
	v_lshlrev_b32_e32 v52, 3, v86
	v_sub_u16_e32 v56, v56, v44
	v_mul_lo_u16_e32 v46, 0x9c, v46
	v_lshl_add_u64 v[124:125], s[8:9], 0, v[52:53]
	v_lshlrev_b16_e32 v52, 4, v56
	v_sub_u16_e32 v60, v60, v46
	v_lshl_add_u64 v[44:45], s[10:11], 0, v[52:53]
	v_lshlrev_b16_e32 v52, 4, v60
	v_lshl_add_u64 v[52:53], s[10:11], 0, v[52:53]
	global_load_dwordx4 v[44:47], v[44:45], off offset:1232
	v_add_u32_e32 v127, 0xc00, v110
	global_load_dwordx4 v[52:55], v[52:53], off offset:1232
	ds_read2_b64 v[62:65], v110 offset1:117
	v_add_u32_e32 v126, 0x1c00, v110
	ds_read2_b64 v[66:69], v127 offset0:84 offset1:201
	ds_read2_b64 v[132:135], v126 offset0:40 offset1:157
	s_movk_i32 s9, 0x1d4
	v_mov_b32_e32 v70, 0x1d4
	v_cmp_lt_u16_e64 s[2:3], 38, v86
	v_add_u32_e32 v129, 0x400, v110
	v_mad_legacy_u16 v56, v59, s9, v56
	v_cndmask_b32_e64 v70, 0, v70, s[2:3]
	v_add_u32_e32 v130, 0x1400, v110
	v_add_u32_e32 v128, 0x2400, v110
	ds_read2_b64 v[148:151], v129 offset0:106 offset1:223
	ds_read2_b64 v[152:155], v130 offset0:62 offset1:179
	;; [unrolled: 1-line block ×3, first 2 shown]
	v_add_lshl_u32 v147, v58, v70, 3
	v_lshlrev_b32_e32 v146, 3, v56
	v_lshlrev_b32_e32 v87, 3, v60
	s_mov_b32 s8, 0x3f5db3d7
	s_waitcnt lgkmcnt(0)
	s_barrier
	v_add_u32_e32 v131, 0x1000, v110
	s_movk_i32 s2, 0x2000
	s_waitcnt vmcnt(3)
	v_pk_mul_f32 v[58:59], v[66:67], v[48:49] op_sel:[0,1]
	v_mov_b32_e32 v56, v51
	v_pk_fma_f32 v[70:71], v[66:67], v[48:49], v[58:59] op_sel:[0,0,1] op_sel_hi:[1,1,0] neg_lo:[0,0,1] neg_hi:[0,0,1]
	v_pk_fma_f32 v[58:59], v[66:67], v[48:49], v[58:59] op_sel:[0,0,1] op_sel_hi:[1,0,0]
	v_pk_mul_f32 v[66:67], v[132:133], v[56:57] op_sel_hi:[1,0]
	v_mov_b32_e32 v71, v59
	v_pk_fma_f32 v[58:59], v[132:133], v[50:51], v[66:67] op_sel:[0,0,1] op_sel_hi:[1,1,0] neg_lo:[0,0,1] neg_hi:[0,0,1]
	v_pk_fma_f32 v[66:67], v[132:133], v[50:51], v[66:67] op_sel:[0,0,1] op_sel_hi:[1,0,0]
	s_waitcnt vmcnt(2)
	v_pk_mul_f32 v[132:133], v[68:69], v[40:41] op_sel:[0,1]
	v_mov_b32_e32 v59, v67
	v_pk_fma_f32 v[136:137], v[68:69], v[40:41], v[132:133] op_sel:[0,0,1] op_sel_hi:[1,1,0] neg_lo:[0,0,1] neg_hi:[0,0,1]
	v_pk_fma_f32 v[68:69], v[68:69], v[40:41], v[132:133] op_sel:[0,0,1] op_sel_hi:[1,0,0]
	v_pk_add_f32 v[66:67], v[62:63], v[70:71]
	v_mov_b32_e32 v137, v69
	v_pk_add_f32 v[66:67], v[66:67], v[58:59]
	s_waitcnt vmcnt(1)
	v_pk_mul_f32 v[68:69], v[152:153], v[44:45] op_sel:[0,1]
	v_mov_b32_e32 v56, v47
	s_waitcnt vmcnt(0)
	v_pk_mul_f32 v[132:133], v[154:155], v[52:53] op_sel:[0,1]
	v_mov_b32_e32 v60, v55
	v_pk_fma_f32 v[140:141], v[152:153], v[44:45], v[68:69] op_sel:[0,0,1] op_sel_hi:[1,1,0] neg_lo:[0,0,1] neg_hi:[0,0,1]
	v_pk_fma_f32 v[68:69], v[152:153], v[44:45], v[68:69] op_sel:[0,0,1] op_sel_hi:[1,0,0]
	v_pk_mul_f32 v[144:145], v[156:157], v[56:57] op_sel_hi:[1,0]
	v_pk_fma_f32 v[152:153], v[154:155], v[52:53], v[132:133] op_sel:[0,0,1] op_sel_hi:[1,1,0] neg_lo:[0,0,1] neg_hi:[0,0,1]
	v_pk_fma_f32 v[132:133], v[154:155], v[52:53], v[132:133] op_sel:[0,0,1] op_sel_hi:[1,0,0]
	v_pk_mul_f32 v[154:155], v[158:159], v[60:61] op_sel_hi:[1,0]
	v_mov_b32_e32 v141, v69
	v_pk_fma_f32 v[68:69], v[156:157], v[46:47], v[144:145] op_sel:[0,0,1] op_sel_hi:[1,1,0] neg_lo:[0,0,1] neg_hi:[0,0,1]
	v_pk_fma_f32 v[144:145], v[156:157], v[46:47], v[144:145] op_sel:[0,0,1] op_sel_hi:[1,0,0]
	v_mov_b32_e32 v153, v133
	v_pk_fma_f32 v[132:133], v[158:159], v[54:55], v[154:155] op_sel:[0,0,1] op_sel_hi:[1,1,0] neg_lo:[0,0,1] neg_hi:[0,0,1]
	v_pk_fma_f32 v[154:155], v[158:159], v[54:55], v[154:155] op_sel:[0,0,1] op_sel_hi:[1,0,0]
	v_mov_b32_e32 v69, v145
	v_mov_b32_e32 v133, v155
	v_pk_add_f32 v[144:145], v[140:141], v[68:69]
	v_pk_add_f32 v[154:155], v[140:141], v[68:69] neg_lo:[0,1] neg_hi:[0,1]
	v_pk_add_f32 v[156:157], v[152:153], v[132:133]
	v_pk_add_f32 v[158:159], v[152:153], v[132:133] neg_lo:[0,1] neg_hi:[0,1]
	v_pk_fma_f32 v[144:145], v[144:145], 0.5, v[148:149] op_sel_hi:[1,0,1] neg_lo:[1,0,0] neg_hi:[1,0,0]
	v_pk_mul_f32 v[154:155], v[154:155], s[8:9] op_sel_hi:[1,0]
	v_pk_fma_f32 v[156:157], v[156:157], 0.5, v[150:151] op_sel_hi:[1,0,1] neg_lo:[1,0,0] neg_hi:[1,0,0]
	v_pk_mul_f32 v[158:159], v[158:159], s[8:9] op_sel_hi:[1,0]
	v_mov_b32_e32 v56, v43
	v_pk_add_f32 v[160:161], v[144:145], v[154:155] op_sel:[0,1] op_sel_hi:[1,0] neg_lo:[0,1] neg_hi:[0,1]
	v_pk_add_f32 v[144:145], v[144:145], v[154:155] op_sel:[0,1] op_sel_hi:[1,0]
	v_pk_add_f32 v[154:155], v[156:157], v[158:159] op_sel:[0,1] op_sel_hi:[1,0] neg_lo:[0,1] neg_hi:[0,1]
	v_pk_add_f32 v[156:157], v[156:157], v[158:159] op_sel:[0,1] op_sel_hi:[1,0]
	v_pk_mul_f32 v[158:159], v[134:135], v[56:57] op_sel_hi:[1,0]
	v_add_u32_e32 v56, 0x1c00, v87
	v_pk_fma_f32 v[162:163], v[134:135], v[42:43], v[158:159] op_sel:[0,0,1] op_sel_hi:[1,1,0] neg_lo:[0,0,1] neg_hi:[0,0,1]
	v_pk_fma_f32 v[134:135], v[134:135], v[42:43], v[158:159] op_sel:[0,0,1] op_sel_hi:[1,0,0]
	v_pk_add_f32 v[158:159], v[70:71], v[58:59]
	v_pk_add_f32 v[58:59], v[70:71], v[58:59] neg_lo:[0,1] neg_hi:[0,1]
	v_pk_fma_f32 v[62:63], v[158:159], 0.5, v[62:63] op_sel_hi:[1,0,1] neg_lo:[1,0,0] neg_hi:[1,0,0]
	v_pk_mul_f32 v[58:59], v[58:59], s[8:9] op_sel_hi:[1,0]
	v_mov_b32_e32 v163, v135
	v_pk_add_f32 v[70:71], v[62:63], v[58:59] op_sel:[0,1] op_sel_hi:[1,0] neg_lo:[0,1] neg_hi:[0,1]
	v_pk_add_f32 v[58:59], v[62:63], v[58:59] op_sel:[0,1] op_sel_hi:[1,0]
	v_mov_b32_e32 v63, v71
	v_mov_b32_e32 v62, v58
	ds_write2_b64 v110, v[66:67], v[62:63] offset1:156
	v_mov_b32_e32 v71, v59
	v_pk_add_f32 v[58:59], v[136:137], v[162:163]
	v_pk_add_f32 v[62:63], v[136:137], v[162:163] neg_lo:[0,1] neg_hi:[0,1]
	v_pk_fma_f32 v[58:59], v[58:59], 0.5, v[64:65] op_sel_hi:[1,0,1] neg_lo:[1,0,0] neg_hi:[1,0,0]
	v_pk_mul_f32 v[62:63], v[62:63], s[8:9] op_sel_hi:[1,0]
	v_pk_add_f32 v[134:135], v[64:65], v[136:137]
	v_pk_add_f32 v[64:65], v[58:59], v[62:63] op_sel:[0,1] op_sel_hi:[1,0]
	v_pk_add_f32 v[58:59], v[58:59], v[62:63] op_sel:[0,1] op_sel_hi:[1,0] neg_lo:[0,1] neg_hi:[0,1]
	v_pk_add_f32 v[134:135], v[134:135], v[162:163]
	v_mov_b32_e32 v63, v59
	v_mov_b32_e32 v59, v65
	ds_write_b64 v110, v[70:71] offset:2496
	v_mov_b32_e32 v62, v64
	ds_write_b64 v147, v[58:59] offset:2496
	v_pk_add_f32 v[58:59], v[148:149], v[140:141]
	ds_write2_b64 v147, v[134:135], v[62:63] offset1:156
	v_pk_add_f32 v[58:59], v[58:59], v[68:69]
	v_mov_b32_e32 v62, v144
	v_mov_b32_e32 v63, v161
	ds_write2_b64 v146, v[58:59], v[62:63] offset1:156
	v_pk_add_f32 v[58:59], v[150:151], v[152:153]
	v_mov_b32_e32 v161, v145
	v_pk_add_f32 v[58:59], v[58:59], v[132:133]
	v_mov_b32_e32 v62, v156
	v_mov_b32_e32 v63, v155
	;; [unrolled: 1-line block ×3, first 2 shown]
	ds_write_b64 v146, v[160:161] offset:2496
	ds_write2_b64 v56, v[58:59], v[62:63] offset0:40 offset1:196
	ds_write_b64 v87, v[154:155] offset:9984
	s_waitcnt lgkmcnt(0)
	s_barrier
	global_load_dwordx4 v[68:71], v57, s[10:11] offset:3728
	v_lshlrev_b32_e32 v56, 3, v61
	global_load_dwordx4 v[64:67], v56, s[10:11] offset:3728
	global_load_dwordx4 v[60:63], v111, s[10:11] offset:3728
	s_nop 0
	global_load_dwordx4 v[56:59], v175, s[10:11] offset:3728
	ds_read2_b64 v[132:135], v110 offset1:117
	ds_read2_b64 v[148:151], v127 offset0:84 offset1:201
	ds_read2_b64 v[152:155], v126 offset0:40 offset1:157
	;; [unrolled: 1-line block ×5, first 2 shown]
	s_waitcnt vmcnt(2) lgkmcnt(4)
	v_pk_mul_f32 v[144:145], v[150:151], v[64:65] op_sel:[0,1]
	v_pk_mul_f32 v[136:137], v[148:149], v[68:69] op_sel:[0,1]
	v_mov_b32_e32 v140, v71
	v_mov_b32_e32 v168, v67
	s_waitcnt vmcnt(1) lgkmcnt(1)
	v_pk_mul_f32 v[170:171], v[160:161], v[60:61] op_sel:[0,1]
	v_pk_fma_f32 v[172:173], v[148:149], v[68:69], v[136:137] op_sel:[0,0,1] op_sel_hi:[1,1,0] neg_lo:[0,0,1] neg_hi:[0,0,1]
	v_pk_fma_f32 v[136:137], v[148:149], v[68:69], v[136:137] op_sel:[0,0,1] op_sel_hi:[1,0,0]
	v_pk_mul_f32 v[140:141], v[152:153], v[140:141] op_sel_hi:[1,0]
	v_pk_fma_f32 v[148:149], v[150:151], v[64:65], v[144:145] op_sel:[0,0,1] op_sel_hi:[1,1,0] neg_lo:[0,0,1] neg_hi:[0,0,1]
	v_pk_fma_f32 v[144:145], v[150:151], v[64:65], v[144:145] op_sel:[0,0,1] op_sel_hi:[1,0,0]
	v_pk_mul_f32 v[150:151], v[154:155], v[168:169] op_sel_hi:[1,0]
	v_pk_fma_f32 v[168:169], v[160:161], v[60:61], v[170:171] op_sel:[0,0,1] op_sel_hi:[1,1,0] neg_lo:[0,0,1] neg_hi:[0,0,1]
	v_pk_fma_f32 v[160:161], v[160:161], v[60:61], v[170:171] op_sel:[0,0,1] op_sel_hi:[1,0,0]
	v_mov_b32_e32 v173, v137
	v_pk_fma_f32 v[136:137], v[152:153], v[70:71], v[140:141] op_sel:[0,0,1] op_sel_hi:[1,1,0] neg_lo:[0,0,1] neg_hi:[0,0,1]
	v_pk_fma_f32 v[140:141], v[152:153], v[70:71], v[140:141] op_sel:[0,0,1] op_sel_hi:[1,0,0]
	v_mov_b32_e32 v152, v63
	v_mov_b32_e32 v169, v161
	s_waitcnt lgkmcnt(0)
	v_pk_mul_f32 v[152:153], v[164:165], v[152:153] op_sel_hi:[1,0]
	s_waitcnt vmcnt(0)
	v_pk_mul_f32 v[160:161], v[162:163], v[56:57] op_sel:[0,1]
	v_mov_b32_e32 v149, v145
	v_pk_fma_f32 v[144:145], v[154:155], v[66:67], v[150:151] op_sel:[0,0,1] op_sel_hi:[1,1,0] neg_lo:[0,0,1] neg_hi:[0,0,1]
	v_pk_fma_f32 v[150:151], v[154:155], v[66:67], v[150:151] op_sel:[0,0,1] op_sel_hi:[1,0,0]
	v_pk_fma_f32 v[154:155], v[164:165], v[62:63], v[152:153] op_sel:[0,0,1] op_sel_hi:[1,1,0] neg_lo:[0,0,1] neg_hi:[0,0,1]
	v_pk_fma_f32 v[152:153], v[164:165], v[62:63], v[152:153] op_sel:[0,0,1] op_sel_hi:[1,0,0]
	;; [unrolled: 2-line block ×3, first 2 shown]
	v_mov_b32_e32 v137, v141
	v_mov_b32_e32 v160, v59
	v_pk_add_f32 v[140:141], v[132:133], v[172:173]
	v_mov_b32_e32 v165, v161
	v_pk_mul_f32 v[160:161], v[166:167], v[160:161] op_sel_hi:[1,0]
	v_pk_add_f32 v[140:141], v[140:141], v[136:137]
	v_pk_fma_f32 v[162:163], v[166:167], v[58:59], v[160:161] op_sel:[0,0,1] op_sel_hi:[1,1,0] neg_lo:[0,0,1] neg_hi:[0,0,1]
	v_pk_fma_f32 v[160:161], v[166:167], v[58:59], v[160:161] op_sel:[0,0,1] op_sel_hi:[1,0,0]
	v_pk_add_f32 v[166:167], v[172:173], v[136:137]
	v_pk_add_f32 v[136:137], v[172:173], v[136:137] neg_lo:[0,1] neg_hi:[0,1]
	v_pk_fma_f32 v[132:133], v[166:167], 0.5, v[132:133] op_sel_hi:[1,0,1] neg_lo:[1,0,0] neg_hi:[1,0,0]
	v_pk_mul_f32 v[136:137], v[136:137], s[8:9] op_sel_hi:[1,0]
	v_mov_b32_e32 v145, v151
	v_pk_add_f32 v[166:167], v[132:133], v[136:137] op_sel:[0,1] op_sel_hi:[1,0]
	v_pk_add_f32 v[132:133], v[132:133], v[136:137] op_sel:[0,1] op_sel_hi:[1,0] neg_lo:[0,1] neg_hi:[0,1]
	v_pk_add_f32 v[150:151], v[134:135], v[148:149]
	v_mov_b32_e32 v136, v166
	v_mov_b32_e32 v137, v133
	v_mov_b32_e32 v133, v167
	v_pk_add_f32 v[150:151], v[150:151], v[144:145]
	ds_write_b64 v110, v[136:137] offset:3744
	ds_write_b64 v110, v[132:133] offset:7488
	ds_write2_b64 v110, v[140:141], v[150:151] offset1:117
	v_pk_add_f32 v[132:133], v[148:149], v[144:145]
	v_mov_b32_e32 v155, v153
	v_pk_fma_f32 v[132:133], v[132:133], 0.5, v[134:135] op_sel_hi:[1,0,1] neg_lo:[1,0,0] neg_hi:[1,0,0]
	v_pk_add_f32 v[134:135], v[148:149], v[144:145] neg_lo:[0,1] neg_hi:[0,1]
	v_mov_b32_e32 v163, v161
	v_pk_mul_f32 v[134:135], v[134:135], s[8:9] op_sel_hi:[1,0]
	v_pk_add_f32 v[152:153], v[156:157], v[168:169]
	v_pk_add_f32 v[136:137], v[132:133], v[134:135] op_sel:[0,1] op_sel_hi:[1,0]
	v_pk_add_f32 v[132:133], v[132:133], v[134:135] op_sel:[0,1] op_sel_hi:[1,0] neg_lo:[0,1] neg_hi:[0,1]
	v_mov_b32_e32 v135, v137
	v_mov_b32_e32 v134, v132
	ds_write_b64 v110, v[134:135] offset:8424
	v_mov_b32_e32 v137, v133
	v_pk_add_f32 v[132:133], v[168:169], v[154:155]
	v_pk_add_f32 v[134:135], v[168:169], v[154:155] neg_lo:[0,1] neg_hi:[0,1]
	v_pk_fma_f32 v[132:133], v[132:133], 0.5, v[156:157] op_sel_hi:[1,0,1] neg_lo:[1,0,0] neg_hi:[1,0,0]
	v_pk_mul_f32 v[134:135], v[134:135], s[8:9] op_sel_hi:[1,0]
	v_pk_add_f32 v[160:161], v[158:159], v[164:165]
	v_pk_add_f32 v[140:141], v[132:133], v[134:135] op_sel:[0,1] op_sel_hi:[1,0]
	v_pk_add_f32 v[132:133], v[132:133], v[134:135] op_sel:[0,1] op_sel_hi:[1,0] neg_lo:[0,1] neg_hi:[0,1]
	v_mov_b32_e32 v134, v140
	v_mov_b32_e32 v135, v133
	ds_write2_b64 v131, v[136:137], v[134:135] offset0:73 offset1:190
	v_pk_add_f32 v[134:135], v[164:165], v[162:163]
	v_pk_add_f32 v[136:137], v[164:165], v[162:163] neg_lo:[0,1] neg_hi:[0,1]
	v_pk_fma_f32 v[134:135], v[134:135], 0.5, v[158:159] op_sel_hi:[1,0,1] neg_lo:[1,0,0] neg_hi:[1,0,0]
	v_pk_mul_f32 v[136:137], v[136:137], s[8:9] op_sel_hi:[1,0]
	v_mov_b32_e32 v133, v141
	v_pk_add_f32 v[140:141], v[134:135], v[136:137] op_sel:[0,1] op_sel_hi:[1,0]
	v_pk_add_f32 v[134:135], v[134:135], v[136:137] op_sel:[0,1] op_sel_hi:[1,0] neg_lo:[0,1] neg_hi:[0,1]
	v_pk_add_f32 v[152:153], v[152:153], v[154:155]
	v_mov_b32_e32 v137, v135
	v_mov_b32_e32 v135, v141
	ds_write2_b64 v128, v[132:133], v[134:135] offset0:18 offset1:135
	v_add_co_u32_e64 v132, s[2:3], s2, v124
	v_pk_add_f32 v[160:161], v[160:161], v[162:163]
	v_mov_b32_e32 v136, v140
	v_addc_co_u32_e64 v133, s[2:3], 0, v125, s[2:3]
	ds_write2_b64 v129, v[152:153], v[160:161] offset0:106 offset1:223
	ds_write_b64 v110, v[136:137] offset:6552
	s_waitcnt lgkmcnt(0)
	s_barrier
	global_load_dwordx2 v[136:137], v[132:133], off offset:3040
	s_movk_i32 s2, 0x4000
	v_add_co_u32_e64 v132, s[2:3], s2, v124
	s_nop 1
	v_addc_co_u32_e64 v133, s[2:3], 0, v125, s[2:3]
	global_load_dwordx2 v[140:141], v[132:133], off offset:464
	s_mov_b64 s[2:3], 0x2be0
	v_lshl_add_u64 v[134:135], v[124:125], 0, s[2:3]
	global_load_dwordx2 v[144:145], v[134:135], off offset:936
	global_load_dwordx2 v[152:153], v[132:133], off offset:1400
	;; [unrolled: 1-line block ×7, first 2 shown]
	s_movk_i32 s2, 0x5000
	v_add_co_u32_e64 v132, s[2:3], s2, v124
	s_nop 1
	v_addc_co_u32_e64 v133, s[2:3], 0, v125, s[2:3]
	global_load_dwordx2 v[164:165], v[132:133], off offset:112
	s_movk_i32 s2, 0x3000
	v_add_co_u32_e64 v124, s[2:3], s2, v124
	s_nop 1
	v_addc_co_u32_e64 v125, s[2:3], 0, v125, s[2:3]
	global_load_dwordx2 v[124:125], v[124:125], off offset:3624
	s_nop 0
	global_load_dwordx2 v[166:167], v[132:133], off offset:1048
	ds_read2_b64 v[132:135], v110 offset1:117
	s_mov_b32 s3, s8
	s_waitcnt vmcnt(11) lgkmcnt(0)
	v_mul_f32_e32 v139, v133, v137
	v_mul_f32_e32 v149, v132, v137
	v_fma_f32 v148, v132, v136, -v139
	v_fmac_f32_e32 v149, v133, v136
	ds_write_b64 v110, v[148:149]
	ds_read2_b64 v[148:151], v130 offset0:62 offset1:179
	s_waitcnt vmcnt(10) lgkmcnt(0)
	v_mul_f32_e32 v132, v149, v141
	v_fma_f32 v136, v148, v140, -v132
	v_mul_f32_e32 v137, v148, v141
	s_waitcnt vmcnt(9)
	v_mul_f32_e32 v132, v135, v145
	v_mul_f32_e32 v141, v134, v145
	v_fmac_f32_e32 v137, v149, v140
	v_fma_f32 v140, v134, v144, -v132
	v_fmac_f32_e32 v141, v135, v144
	ds_read2_b64 v[132:135], v129 offset0:106 offset1:223
	s_waitcnt vmcnt(8)
	v_mul_f32_e32 v139, v151, v153
	v_mul_f32_e32 v145, v150, v153
	v_fma_f32 v144, v150, v152, -v139
	v_fmac_f32_e32 v145, v151, v152
	ds_read2_b64 v[148:151], v126 offset0:40 offset1:157
	s_waitcnt vmcnt(7) lgkmcnt(1)
	v_mul_f32_e32 v139, v133, v155
	v_mul_f32_e32 v153, v132, v155
	v_fma_f32 v152, v132, v154, -v139
	v_fmac_f32_e32 v153, v133, v154
	s_waitcnt vmcnt(6) lgkmcnt(0)
	v_mul_f32_e32 v132, v149, v157
	v_mul_f32_e32 v133, v148, v157
	v_fma_f32 v132, v148, v156, -v132
	v_fmac_f32_e32 v133, v149, v156
	v_add_u32_e32 v139, 0x1800, v110
	ds_write2_b64 v110, v[140:141], v[152:153] offset0:117 offset1:234
	ds_write2_b64 v139, v[144:145], v[132:133] offset0:51 offset1:168
	s_waitcnt vmcnt(5)
	v_mul_f32_e32 v132, v135, v159
	v_mul_f32_e32 v141, v134, v159
	v_fma_f32 v140, v134, v158, -v132
	v_fmac_f32_e32 v141, v135, v158
	ds_read2_b64 v[132:135], v127 offset0:84 offset1:201
	s_waitcnt vmcnt(4)
	v_mul_f32_e32 v139, v151, v161
	v_mul_f32_e32 v145, v150, v161
	v_fma_f32 v144, v150, v160, -v139
	v_fmac_f32_e32 v145, v151, v160
	ds_read2_b64 v[148:151], v128 offset0:18 offset1:135
	s_waitcnt vmcnt(3) lgkmcnt(1)
	v_mul_f32_e32 v139, v133, v163
	v_mul_f32_e32 v153, v132, v163
	v_fma_f32 v152, v132, v162, -v139
	v_fmac_f32_e32 v153, v133, v162
	v_add_u32_e32 v132, 0x800, v110
	ds_write2_b64 v132, v[140:141], v[152:153] offset0:95 offset1:212
	s_waitcnt vmcnt(2) lgkmcnt(1)
	v_mul_f32_e32 v132, v149, v165
	v_mul_f32_e32 v133, v148, v165
	v_fma_f32 v132, v148, v164, -v132
	v_fmac_f32_e32 v133, v149, v164
	v_add_u32_e32 v139, 0x2000, v110
	ds_write2_b64 v139, v[144:145], v[132:133] offset0:29 offset1:146
	s_waitcnt vmcnt(1)
	v_mul_f32_e32 v132, v135, v125
	v_mul_f32_e32 v133, v134, v125
	v_fma_f32 v132, v134, v124, -v132
	v_fmac_f32_e32 v133, v135, v124
	s_waitcnt vmcnt(0)
	v_mul_f32_e32 v124, v151, v167
	v_mul_f32_e32 v125, v150, v167
	v_fma_f32 v124, v150, v166, -v124
	v_fmac_f32_e32 v125, v151, v166
	ds_write2_b64 v131, v[132:133], v[136:137] offset0:73 offset1:190
	ds_write_b64 v110, v[124:125] offset:10296
	s_waitcnt lgkmcnt(0)
	s_barrier
	ds_read2_b64 v[132:135], v110 offset1:117
	ds_read2_b64 v[148:151], v130 offset0:62 offset1:179
	ds_read2_b64 v[156:159], v129 offset0:106 offset1:223
	;; [unrolled: 1-line block ×3, first 2 shown]
	s_waitcnt lgkmcnt(2)
	v_pk_add_f32 v[154:155], v[132:133], v[148:149] neg_lo:[0,1] neg_hi:[0,1]
	v_pk_add_f32 v[136:137], v[134:135], v[150:151] neg_lo:[0,1] neg_hi:[0,1]
	ds_read2_b64 v[148:151], v127 offset0:84 offset1:201
	ds_read2_b64 v[164:167], v128 offset0:18 offset1:135
	v_pk_fma_f32 v[152:153], v[132:133], 2.0, v[154:155] op_sel_hi:[1,0,1] neg_lo:[0,0,1] neg_hi:[0,0,1]
	v_pk_fma_f32 v[134:135], v[134:135], 2.0, v[136:137] op_sel_hi:[1,0,1] neg_lo:[0,0,1] neg_hi:[0,0,1]
	s_waitcnt lgkmcnt(2)
	v_pk_add_f32 v[170:171], v[156:157], v[160:161] neg_lo:[0,1] neg_hi:[0,1]
	v_pk_add_f32 v[160:161], v[158:159], v[162:163] neg_lo:[0,1] neg_hi:[0,1]
	s_waitcnt lgkmcnt(0)
	v_pk_add_f32 v[164:165], v[148:149], v[164:165] neg_lo:[0,1] neg_hi:[0,1]
	v_pk_add_f32 v[190:191], v[150:151], v[166:167] neg_lo:[0,1] neg_hi:[0,1]
	v_pk_fma_f32 v[168:169], v[156:157], 2.0, v[170:171] op_sel_hi:[1,0,1] neg_lo:[0,0,1] neg_hi:[0,0,1]
	v_pk_fma_f32 v[158:159], v[158:159], 2.0, v[160:161] op_sel_hi:[1,0,1] neg_lo:[0,0,1] neg_hi:[0,0,1]
	;; [unrolled: 1-line block ×4, first 2 shown]
	s_barrier
	ds_write_b128 v99, v[152:155]
	ds_write_b128 v174, v[134:137]
	;; [unrolled: 1-line block ×6, first 2 shown]
	s_waitcnt lgkmcnt(0)
	s_barrier
	ds_read2_b64 v[132:135], v128 offset0:18 offset1:135
	ds_read2_b64 v[136:139], v127 offset0:84 offset1:201
	s_waitcnt lgkmcnt(1)
	v_pk_mul_f32 v[82:83], v[82:83], v[134:135]
	s_nop 0
	v_pk_fma_f32 v[124:125], v[122:123], v[134:135], v[82:83] op_sel:[0,0,1] op_sel_hi:[1,1,0]
	v_pk_fma_f32 v[82:83], v[122:123], v[134:135], v[82:83] op_sel:[0,0,1] op_sel_hi:[1,1,0] neg_lo:[0,0,1] neg_hi:[0,0,1]
	v_pk_mul_f32 v[122:123], v[72:73], v[132:133]
	v_mov_b32_e32 v125, v83
	s_waitcnt lgkmcnt(0)
	v_pk_add_f32 v[82:83], v[138:139], v[124:125] neg_lo:[0,1] neg_hi:[0,1]
	v_pk_fma_f32 v[134:135], v[120:121], v[132:133], v[122:123] op_sel:[0,0,1] op_sel_hi:[1,1,0]
	v_pk_fma_f32 v[132:133], v[120:121], v[132:133], v[122:123] op_sel:[0,0,1] op_sel_hi:[1,1,0] neg_lo:[0,0,1] neg_hi:[0,0,1]
	ds_read2_b64 v[122:125], v126 offset0:40 offset1:157
	v_mov_b32_e32 v135, v133
	v_pk_add_f32 v[140:141], v[136:137], v[134:135] neg_lo:[0,1] neg_hi:[0,1]
	ds_read2_b64 v[132:135], v129 offset0:106 offset1:223
	v_pk_fma_f32 v[138:139], v[138:139], 2.0, v[82:83] op_sel_hi:[1,0,1] neg_lo:[0,0,1] neg_hi:[0,0,1]
	s_waitcnt lgkmcnt(1)
	v_pk_mul_f32 v[80:81], v[80:81], v[124:125]
	v_pk_fma_f32 v[136:137], v[136:137], 2.0, v[140:141] op_sel_hi:[1,0,1] neg_lo:[0,0,1] neg_hi:[0,0,1]
	v_pk_fma_f32 v[142:143], v[78:79], v[124:125], v[80:81] op_sel:[0,0,1] op_sel_hi:[1,1,0]
	v_pk_fma_f32 v[78:79], v[78:79], v[124:125], v[80:81] op_sel:[0,0,1] op_sel_hi:[1,1,0] neg_lo:[0,0,1] neg_hi:[0,0,1]
	s_nop 0
	v_mov_b32_e32 v143, v79
	v_pk_mul_f32 v[78:79], v[72:73], v[122:123]
	s_waitcnt lgkmcnt(0)
	v_pk_add_f32 v[142:143], v[134:135], v[142:143] neg_lo:[0,1] neg_hi:[0,1]
	v_pk_fma_f32 v[124:125], v[120:121], v[122:123], v[78:79] op_sel:[0,0,1] op_sel_hi:[1,1,0]
	v_pk_fma_f32 v[122:123], v[120:121], v[122:123], v[78:79] op_sel:[0,0,1] op_sel_hi:[1,1,0] neg_lo:[0,0,1] neg_hi:[0,0,1]
	ds_read2_b64 v[78:81], v130 offset0:62 offset1:179
	v_mov_b32_e32 v125, v123
	v_pk_add_f32 v[144:145], v[132:133], v[124:125] neg_lo:[0,1] neg_hi:[0,1]
	ds_read2_b64 v[122:125], v110 offset1:117
	v_pk_fma_f32 v[134:135], v[134:135], 2.0, v[142:143] op_sel_hi:[1,0,1] neg_lo:[0,0,1] neg_hi:[0,0,1]
	s_waitcnt lgkmcnt(1)
	v_pk_mul_f32 v[74:75], v[74:75], v[80:81]
	v_pk_mul_f32 v[72:73], v[72:73], v[78:79]
	v_pk_fma_f32 v[148:149], v[76:77], v[80:81], v[74:75] op_sel:[0,0,1] op_sel_hi:[1,1,0]
	v_pk_fma_f32 v[74:75], v[76:77], v[80:81], v[74:75] op_sel:[0,0,1] op_sel_hi:[1,1,0] neg_lo:[0,0,1] neg_hi:[0,0,1]
	v_pk_fma_f32 v[80:81], v[120:121], v[78:79], v[72:73] op_sel:[0,0,1] op_sel_hi:[1,1,0]
	v_pk_fma_f32 v[72:73], v[120:121], v[78:79], v[72:73] op_sel:[0,0,1] op_sel_hi:[1,1,0] neg_lo:[0,0,1] neg_hi:[0,0,1]
	v_mov_b32_e32 v149, v75
	v_mov_b32_e32 v81, v73
	s_waitcnt lgkmcnt(0)
	v_pk_add_f32 v[74:75], v[124:125], v[148:149] neg_lo:[0,1] neg_hi:[0,1]
	v_pk_add_f32 v[72:73], v[122:123], v[80:81] neg_lo:[0,1] neg_hi:[0,1]
	v_pk_fma_f32 v[76:77], v[124:125], 2.0, v[74:75] op_sel_hi:[1,0,1] neg_lo:[0,0,1] neg_hi:[0,0,1]
	v_pk_fma_f32 v[78:79], v[122:123], 2.0, v[72:73] op_sel_hi:[1,0,1] neg_lo:[0,0,1] neg_hi:[0,0,1]
	;; [unrolled: 1-line block ×3, first 2 shown]
	s_barrier
	ds_write2_b64 v176, v[78:79], v[72:73] offset1:2
	ds_write2_b64 v177, v[76:77], v[74:75] offset1:2
	;; [unrolled: 1-line block ×6, first 2 shown]
	s_waitcnt lgkmcnt(0)
	s_barrier
	ds_read2_b64 v[72:75], v130 offset0:62 offset1:179
	ds_read2_b64 v[76:79], v127 offset0:84 offset1:201
	;; [unrolled: 1-line block ×4, first 2 shown]
	s_waitcnt lgkmcnt(3)
	v_mov_b32_e32 v82, v73
	v_pk_mul_f32 v[80:81], v[12:13], v[72:73]
	v_pk_mul_f32 v[132:133], v[12:13], v[82:83]
	v_mov_b32_e32 v12, v13
	v_pk_mul_f32 v[72:73], v[12:13], v[72:73]
	s_waitcnt lgkmcnt(0)
	v_pk_mul_f32 v[12:13], v[14:15], v[128:129]
	v_mov_b32_e32 v82, v80
	v_mov_b32_e32 v83, v12
	;; [unrolled: 1-line block ×3, first 2 shown]
	v_pk_add_f32 v[134:135], v[82:83], v[12:13]
	ds_read2_b64 v[80:83], v110 offset1:117
	ds_read2_b64 v[124:127], v126 offset0:40 offset1:157
	v_mov_b32_e32 v12, v129
	v_pk_mul_f32 v[8:9], v[8:9], v[76:77]
	v_pk_mul_f32 v[138:139], v[14:15], v[12:13]
	v_pk_fma_f32 v[12:13], v[116:117], v[76:77], v[8:9] op_sel:[0,0,1] op_sel_hi:[1,1,0]
	v_pk_fma_f32 v[8:9], v[116:117], v[76:77], v[8:9] op_sel:[0,0,1] op_sel_hi:[1,1,0] neg_lo:[0,0,1] neg_hi:[0,0,1]
	v_mov_b32_e32 v116, v15
	v_mov_b32_e32 v13, v9
	s_waitcnt lgkmcnt(0)
	v_pk_mul_f32 v[8:9], v[114:115], v[124:125]
	v_mov_b32_e32 v129, 0.5
	v_pk_fma_f32 v[76:77], v[10:11], v[124:125], v[8:9] op_sel:[0,0,1] op_sel_hi:[1,1,0]
	v_pk_fma_f32 v[8:9], v[10:11], v[124:125], v[8:9] op_sel:[0,0,1] op_sel_hi:[1,1,0] neg_lo:[0,0,1] neg_hi:[0,0,1]
	v_mov_b32_e32 v139, v82
	v_mov_b32_e32 v77, v9
	v_pk_add_f32 v[8:9], v[80:81], v[12:13]
	v_pk_add_f32 v[10:11], v[12:13], v[76:77]
	v_pk_add_f32 v[12:13], v[12:13], v[76:77] neg_lo:[0,1] neg_hi:[0,1]
	v_pk_fma_f32 v[10:11], v[10:11], 0.5, v[80:81] op_sel_hi:[1,0,1] neg_lo:[1,0,0] neg_hi:[1,0,0]
	v_pk_mul_f32 v[12:13], v[12:13], s[8:9] op_sel_hi:[1,0]
	v_pk_add_f32 v[8:9], v[8:9], v[76:77]
	v_pk_add_f32 v[136:137], v[12:13], v[10:11] op_sel:[1,0] op_sel_hi:[0,1]
	v_pk_add_f32 v[10:11], v[10:11], v[12:13] op_sel:[0,1] op_sel_hi:[1,0] neg_lo:[0,1] neg_hi:[0,1]
	v_pk_mul_f32 v[12:13], v[4:5], v[78:79] op_sel:[1,0]
	v_mov_b32_e32 v114, 0x3f5db3d7
	v_pk_fma_f32 v[76:77], v[4:5], v[78:79], v[12:13] op_sel:[0,0,1] op_sel_hi:[0,1,0]
	v_pk_fma_f32 v[78:79], v[4:5], v[78:79], v[12:13] op_sel:[0,0,1] op_sel_hi:[0,1,0] neg_lo:[0,0,1] neg_hi:[0,0,1]
	v_pk_mul_f32 v[4:5], v[6:7], v[126:127] op_sel:[1,0]
	v_mov_b32_e32 v77, v79
	v_pk_fma_f32 v[12:13], v[6:7], v[126:127], v[4:5] op_sel:[0,0,1] op_sel_hi:[0,1,0]
	v_pk_fma_f32 v[6:7], v[6:7], v[126:127], v[4:5] op_sel:[0,0,1] op_sel_hi:[0,1,0] neg_lo:[0,0,1] neg_hi:[0,0,1]
	v_mov_b32_e32 v13, v7
	v_pk_add_f32 v[80:81], v[76:77], v[12:13]
	v_mov_b32_e32 v133, v79
	v_mov_b32_e32 v73, v7
	v_pk_add_f32 v[4:5], v[82:83], v[76:77]
	v_mov_b32_e32 v117, v80
	v_pk_add_f32 v[72:73], v[132:133], v[72:73] neg_lo:[0,1] neg_hi:[0,1]
	v_pk_add_f32 v[4:5], v[4:5], v[12:13]
	v_fma_f32 v6, -0.5, v81, v83
	v_sub_f32_e32 v12, v76, v12
	v_pk_fma_f32 v[80:81], v[116:117], v[128:129], v[138:139] neg_lo:[1,0,0] neg_hi:[1,0,0]
	v_pk_mul_f32 v[82:83], v[72:73], s[2:3]
	v_mul_f32_e32 v14, 0x3f5db3d7, v12
	v_mov_b32_e32 v78, v121
	v_mov_b32_e32 v79, v114
	;; [unrolled: 1-line block ×4, first 2 shown]
	v_fmamk_f32 v13, v12, 0x3f5db3d7, v6
	v_mov_b32_e32 v115, v120
	v_pk_add_f32 v[78:79], v[78:79], v[72:73]
	v_pk_add_f32 v[142:143], v[6:7], v[14:15] neg_lo:[0,1] neg_hi:[0,1]
	v_pk_add_f32 v[6:7], v[72:73], v[80:81] neg_lo:[0,1] neg_hi:[0,1]
	v_mov_b32_e32 v15, v134
	v_add_f32_e32 v12, v134, v135
	v_mov_b32_e32 v79, v83
	v_pk_mul_f32 v[6:7], v[6:7], s[8:9]
	v_pk_add_f32 v[14:15], v[114:115], v[14:15]
	v_fma_f32 v76, -0.5, v12, v120
	v_mov_b32_e32 v77, v135
	v_mov_b32_e32 v7, v15
	v_pk_add_f32 v[140:141], v[78:79], v[80:81]
	v_pk_mul_f32 v[78:79], v[0:1], v[74:75] op_sel:[1,0]
	v_pk_add_f32 v[138:139], v[6:7], v[76:77]
	v_add_f32_e32 v7, v72, v80
	v_pk_fma_f32 v[80:81], v[0:1], v[74:75], v[78:79] op_sel:[0,0,1] op_sel_hi:[1,1,0]
	v_pk_fma_f32 v[0:1], v[0:1], v[74:75], v[78:79] op_sel:[0,0,1] op_sel_hi:[0,1,0] neg_lo:[0,0,1] neg_hi:[0,0,1]
	v_mov_b32_e32 v81, v1
	v_pk_mul_f32 v[0:1], v[2:3], v[130:131] op_sel:[1,0]
	v_fma_f32 v15, -0.5, v7, v121
	v_pk_fma_f32 v[74:75], v[2:3], v[130:131], v[0:1] op_sel:[0,0,1] op_sel_hi:[1,1,0]
	v_pk_fma_f32 v[0:1], v[2:3], v[130:131], v[0:1] op_sel:[0,0,1] op_sel_hi:[0,1,0] neg_lo:[0,0,1] neg_hi:[0,0,1]
	v_mov_b32_e32 v75, v1
	v_pk_add_f32 v[0:1], v[122:123], v[80:81]
	v_pk_add_f32 v[2:3], v[80:81], v[74:75] neg_lo:[0,1] neg_hi:[0,1]
	v_pk_add_f32 v[78:79], v[0:1], v[74:75]
	v_pk_add_f32 v[0:1], v[80:81], v[74:75]
	v_pk_mul_f32 v[2:3], v[2:3], s[8:9] op_sel_hi:[1,0]
	v_pk_fma_f32 v[0:1], v[0:1], 0.5, v[122:123] op_sel_hi:[1,0,1] neg_lo:[1,0,0] neg_hi:[1,0,0]
	v_sub_f32_e32 v7, v134, v135
	v_mov_b32_e32 v14, v0
	v_pk_add_f32 v[144:145], v[2:3], v[0:1] op_sel:[1,0] op_sel_hi:[0,1]
	v_mov_b32_e32 v77, v1
	v_mov_b32_e32 v0, v10
	;; [unrolled: 1-line block ×3, first 2 shown]
	v_mul_f32_e32 v73, 0x3f5db3d7, v7
	v_fmamk_f32 v83, v7, 0x3f5db3d7, v15
	v_mov_b32_e32 v7, v2
	s_barrier
	ds_write2_b64 v184, v[8:9], v[0:1] offset1:4
	v_mov_b32_e32 v0, v136
	v_mov_b32_e32 v1, v11
	;; [unrolled: 1-line block ×3, first 2 shown]
	v_pk_add_f32 v[74:75], v[76:77], v[6:7] neg_lo:[0,1] neg_hi:[0,1]
	ds_write_b64 v184, v[0:1] offset:64
	v_mov_b32_e32 v0, v141
	v_mov_b32_e32 v1, v142
	v_pk_add_f32 v[72:73], v[14:15], v[72:73] neg_lo:[0,1] neg_hi:[0,1]
	v_mov_b32_e32 v12, v143
	ds_write_b64 v185, v[0:1] offset:64
	v_mov_b32_e32 v0, v139
	v_mov_b32_e32 v1, v140
	;; [unrolled: 1-line block ×3, first 2 shown]
	ds_write2_b64 v185, v[4:5], v[12:13] offset1:4
	ds_write2_b64 v186, v[0:1], v[82:83] offset1:4
	v_mov_b32_e32 v0, v138
	v_mov_b32_e32 v1, v73
	ds_write_b64 v186, v[0:1] offset:64
	v_mov_b32_e32 v0, v72
	v_mov_b32_e32 v1, v145
	ds_write2_b64 v187, v[78:79], v[0:1] offset1:4
	v_mov_b32_e32 v0, v144
	v_mov_b32_e32 v1, v75
	ds_write_b64 v187, v[0:1] offset:64
	s_waitcnt lgkmcnt(0)
	s_barrier
	s_and_saveexec_b64 s[2:3], s[0:1]
	s_xor_b64 s[0:1], exec, s[2:3]
	s_andn2_saveexec_b64 s[0:1], s[0:1]
	s_cbranch_execz .LBB0_7
; %bb.6:
	v_add_u32_e32 v0, 0x400, v110
	ds_read2_b64 v[2:5], v0 offset0:88 offset1:196
	v_add_u32_e32 v0, 0xc00, v110
	v_add_u32_e32 v1, 0x2000, v110
	ds_read2_b64 v[8:11], v110 offset1:108
	ds_read2_b64 v[12:15], v0 offset0:48 offset1:156
	ds_read2_b64 v[72:75], v1 offset0:56 offset1:164
	v_add_u32_e32 v1, 0x1800, v110
	v_add_u32_e32 v0, 0x1000, v110
	ds_read2_b64 v[76:79], v1 offset0:96 offset1:204
	ds_read2_b64 v[80:83], v0 offset0:136 offset1:244
	ds_read_b64 v[118:119], v110 offset:10368
	s_waitcnt lgkmcnt(4)
	v_mov_b32_e32 v141, v14
	s_waitcnt lgkmcnt(3)
	v_mov_b32_e32 v144, v74
	v_mov_b32_e32 v145, v73
	s_waitcnt lgkmcnt(2)
	v_mov_b32_e32 v138, v76
	s_waitcnt lgkmcnt(1)
	v_mov_b32_e32 v139, v80
	v_mov_b32_e32 v140, v81
	v_mov_b32_e32 v136, v2
	v_mov_b32_e32 v137, v11
	v_mov_b32_e32 v74, v82
	v_mov_b32_e32 v73, v77
	v_mov_b32_e32 v142, v15
	v_mov_b32_e32 v143, v12
	v_mov_b32_e32 v11, v3
.LBB0_7:
	s_or_b64 exec, exec, s[0:1]
	v_mov_b32_e32 v134, v48
	v_mov_b32_e32 v135, v48
	;; [unrolled: 1-line block ×48, first 2 shown]
	s_waitcnt lgkmcnt(0)
	s_barrier
	s_and_saveexec_b64 s[0:1], vcc
	s_cbranch_execz .LBB0_9
; %bb.8:
	v_pk_mul_f32 v[150:151], v[38:39], v[118:119] op_sel:[0,1]
	v_pk_mul_f32 v[154:155], v[36:37], v[74:75] op_sel:[0,1]
	v_mov_b32_e32 v12, v13
	v_pk_fma_f32 v[168:169], v[38:39], v[118:119], v[150:151] op_sel:[0,0,1] op_sel_hi:[1,1,0]
	v_pk_fma_f32 v[38:39], v[38:39], v[118:119], v[150:151] op_sel:[0,0,1] op_sel_hi:[1,0,0] neg_lo:[1,0,0] neg_hi:[1,0,0]
	v_pk_mul_f32 v[158:159], v[34:35], v[144:145] op_sel:[0,1]
	v_pk_mul_f32 v[12:13], v[18:19], v[12:13] op_sel_hi:[1,0]
	v_mov_b32_e32 v169, v39
	v_pk_fma_f32 v[38:39], v[36:37], v[144:145], v[154:155] op_sel:[0,0,1] op_sel_hi:[1,1,0]
	v_pk_fma_f32 v[36:37], v[36:37], v[144:145], v[154:155] op_sel:[0,0,1] op_sel_hi:[1,0,0] neg_lo:[1,0,0] neg_hi:[1,0,0]
	v_pk_mul_f32 v[164:165], v[30:31], v[72:73] op_sel:[0,1]
	v_mov_b32_e32 v39, v37
	v_pk_fma_f32 v[36:37], v[34:35], v[72:73], v[158:159] op_sel:[0,0,1] op_sel_hi:[1,1,0]
	v_pk_fma_f32 v[34:35], v[34:35], v[72:73], v[158:159] op_sel:[0,0,1] op_sel_hi:[1,0,0] neg_lo:[1,0,0] neg_hi:[1,0,0]
	v_pk_fma_f32 v[72:73], v[18:19], v[142:143], v[12:13] op_sel:[0,1,1] op_sel_hi:[1,1,0]
	v_pk_fma_f32 v[12:13], v[18:19], v[142:143], v[12:13] op_sel:[0,1,1] op_sel_hi:[1,1,0] neg_lo:[1,0,0] neg_hi:[1,0,0]
	v_pk_mul_f32 v[162:163], v[24:25], v[142:143] op_sel_hi:[1,0]
	v_mov_b32_e32 v82, v83
	v_mov_b32_e32 v73, v13
	v_pk_fma_f32 v[118:119], v[30:31], v[138:139], v[164:165] op_sel:[0,0,1] op_sel_hi:[1,1,0]
	v_pk_fma_f32 v[12:13], v[30:31], v[138:139], v[164:165] op_sel:[0,0,1] op_sel_hi:[1,0,0] neg_lo:[1,0,0] neg_hi:[1,0,0]
	v_pk_mul_f32 v[82:83], v[28:29], v[82:83] op_sel_hi:[1,0]
	v_mov_b32_e32 v119, v13
	v_pk_fma_f32 v[142:143], v[24:25], v[140:141], v[162:163] op_sel:[0,1,1] op_sel_hi:[1,1,0]
	v_pk_fma_f32 v[12:13], v[24:25], v[140:141], v[162:163] op_sel:[0,1,1] op_sel_hi:[1,1,0] neg_lo:[1,0,0] neg_hi:[1,0,0]
	v_pk_mul_f32 v[166:167], v[26:27], v[140:141] op_sel_hi:[1,0]
	v_mov_b32_e32 v143, v13
	v_pk_fma_f32 v[140:141], v[28:29], v[74:75], v[82:83] op_sel:[0,0,1] op_sel_hi:[1,1,0]
	v_pk_fma_f32 v[12:13], v[28:29], v[74:75], v[82:83] op_sel:[0,0,1] op_sel_hi:[1,0,0] neg_lo:[1,0,0] neg_hi:[1,0,0]
	v_pk_mul_f32 v[148:149], v[20:21], v[136:137] op_sel:[0,1]
	v_mov_b32_e32 v141, v13
	v_pk_fma_f32 v[82:83], v[26:27], v[138:139], v[166:167] op_sel:[0,1,1] op_sel_hi:[1,1,0]
	v_pk_fma_f32 v[12:13], v[26:27], v[138:139], v[166:167] op_sel:[0,1,1] op_sel_hi:[1,1,0] neg_lo:[1,0,0] neg_hi:[1,0,0]
	v_pk_mul_f32 v[152:153], v[22:23], v[10:11] op_sel:[0,1]
	;; [unrolled: 4-line block ×3, first 2 shown]
	v_mov_b32_e32 v13, v11
	v_pk_fma_f32 v[144:145], v[22:23], v[136:137], v[152:153] op_sel:[0,0,1] op_sel_hi:[1,1,0]
	v_pk_fma_f32 v[10:11], v[22:23], v[136:137], v[152:153] op_sel:[0,0,1] op_sel_hi:[1,0,0] neg_lo:[1,0,0] neg_hi:[1,0,0]
	v_pk_add_f32 v[152:153], v[12:13], v[168:169] neg_lo:[0,1] neg_hi:[0,1]
	s_mov_b32 s2, 0xbeedf032
	v_mov_b32_e32 v145, v11
	v_pk_fma_f32 v[148:149], v[16:17], v[4:5], v[156:157] op_sel:[0,0,1] op_sel_hi:[1,1,0]
	v_pk_fma_f32 v[4:5], v[16:17], v[4:5], v[156:157] op_sel:[0,0,1] op_sel_hi:[1,0,0] neg_lo:[1,0,0] neg_hi:[1,0,0]
	v_pk_add_f32 v[154:155], v[168:169], v[12:13]
	s_mov_b32 s10, 0x3f62ad3f
	v_pk_mul_f32 v[10:11], v[152:153], s[2:3] op_sel_hi:[1,0]
	v_mov_b32_e32 v149, v5
	v_pk_add_f32 v[156:157], v[144:145], v[38:39] neg_lo:[0,1] neg_hi:[0,1]
	v_pk_fma_f32 v[4:5], v[154:155], s[10:11], v[10:11] op_sel:[0,0,1] op_sel_hi:[1,0,0]
	v_pk_fma_f32 v[10:11], v[154:155], s[10:11], v[10:11] op_sel:[0,0,1] op_sel_hi:[1,0,0] neg_lo:[0,0,1] neg_hi:[0,0,1]
	v_pk_add_f32 v[150:151], v[12:13], v[8:9]
	v_pk_add_f32 v[158:159], v[38:39], v[144:145]
	v_mov_b32_e32 v12, v4
	v_mov_b32_e32 v13, v11
	s_mov_b32 s8, 0x3f116cb1
	v_pk_mul_f32 v[16:17], v[156:157], s[22:23] op_sel_hi:[1,0]
	v_pk_mul_f32 v[160:161], v[32:33], v[78:79] op_sel:[0,1]
	v_mov_b32_e32 v37, v35
	v_pk_add_f32 v[18:19], v[8:9], v[12:13]
	v_pk_fma_f32 v[12:13], v[158:159], s[8:9], v[16:17] op_sel:[0,0,1] op_sel_hi:[1,0,0]
	v_pk_fma_f32 v[16:17], v[158:159], s[8:9], v[16:17] op_sel:[0,0,1] op_sel_hi:[1,0,0] neg_lo:[0,0,1] neg_hi:[0,0,1]
	v_pk_fma_f32 v[34:35], v[32:33], v[78:79], v[160:161] op_sel:[0,0,1] op_sel_hi:[1,1,0]
	v_pk_fma_f32 v[32:33], v[32:33], v[78:79], v[160:161] op_sel:[0,0,1] op_sel_hi:[1,0,0] neg_lo:[1,0,0] neg_hi:[1,0,0]
	v_pk_add_f32 v[160:161], v[148:149], v[36:37] neg_lo:[0,1] neg_hi:[0,1]
	v_mov_b32_e32 v20, v12
	v_mov_b32_e32 v21, v17
	s_mov_b32 s30, 0xbf7e222b
	v_pk_add_f32 v[162:163], v[36:37], v[148:149]
	v_pk_add_f32 v[22:23], v[20:21], v[18:19]
	s_mov_b32 s2, 0x3df6dbef
	v_pk_mul_f32 v[20:21], v[160:161], s[30:31] op_sel_hi:[1,0]
	v_mov_b32_e32 v35, v33
	v_pk_fma_f32 v[18:19], v[162:163], s[2:3], v[20:21] op_sel:[0,0,1] op_sel_hi:[1,0,0]
	v_pk_fma_f32 v[20:21], v[162:163], s[2:3], v[20:21] op_sel:[0,0,1] op_sel_hi:[1,0,0] neg_lo:[0,0,1] neg_hi:[0,0,1]
	v_pk_add_f32 v[164:165], v[72:73], v[34:35] neg_lo:[0,1] neg_hi:[0,1]
	v_mov_b32_e32 v24, v18
	v_mov_b32_e32 v25, v21
	s_mov_b32 s16, 0xbf6f5d39
	v_pk_add_f32 v[144:145], v[144:145], v[150:151]
	v_pk_add_f32 v[166:167], v[34:35], v[72:73]
	v_pk_add_f32 v[26:27], v[24:25], v[22:23]
	s_mov_b32 s14, 0xbeb58ec6
	v_pk_mul_f32 v[24:25], v[164:165], s[16:17] op_sel_hi:[1,0]
	v_pk_add_f32 v[144:145], v[148:149], v[144:145]
	v_pk_fma_f32 v[22:23], v[166:167], s[14:15], v[24:25] op_sel:[0,0,1] op_sel_hi:[1,0,0]
	v_pk_fma_f32 v[24:25], v[166:167], s[14:15], v[24:25] op_sel:[0,0,1] op_sel_hi:[1,0,0] neg_lo:[0,0,1] neg_hi:[0,0,1]
	v_pk_add_f32 v[72:73], v[72:73], v[144:145]
	v_pk_add_f32 v[138:139], v[142:143], v[118:119] neg_lo:[0,1] neg_hi:[0,1]
	v_mov_b32_e32 v28, v22
	v_mov_b32_e32 v29, v25
	s_mov_b32 s20, 0xbf29c268
	v_pk_add_f32 v[72:73], v[142:143], v[72:73]
	v_pk_add_f32 v[136:137], v[118:119], v[142:143]
	v_pk_add_f32 v[30:31], v[28:29], v[26:27]
	s_mov_b32 s18, 0xbf3f9e67
	v_pk_mul_f32 v[28:29], v[138:139], s[20:21] op_sel_hi:[1,0]
	v_pk_add_f32 v[72:73], v[82:83], v[72:73]
	v_pk_fma_f32 v[26:27], v[136:137], s[18:19], v[28:29] op_sel:[0,0,1] op_sel_hi:[1,0,0]
	v_pk_fma_f32 v[28:29], v[136:137], s[18:19], v[28:29] op_sel:[0,0,1] op_sel_hi:[1,0,0] neg_lo:[0,0,1] neg_hi:[0,0,1]
	v_pk_add_f32 v[72:73], v[140:141], v[72:73]
	;; [unrolled: 13-line block ×3, first 2 shown]
	v_mul_u32_u24_e32 v99, 0x9c, v182
	v_mov_b32_e32 v172, v30
	v_mov_b32_e32 v173, v33
	v_pk_add_f32 v[34:35], v[38:39], v[34:35]
	v_add_lshl_u32 v99, v99, v183, 3
	v_pk_add_f32 v[170:171], v[172:173], v[170:171]
	v_pk_add_f32 v[34:35], v[168:169], v[34:35]
	v_pk_mul_f32 v[36:37], v[152:153], s[22:23] op_sel_hi:[1,0]
	ds_write2_b64 v99, v[34:35], v[170:171] offset1:12
	v_pk_fma_f32 v[34:35], v[154:155], s[8:9], v[36:37] op_sel:[0,0,1] op_sel_hi:[1,0,0]
	v_pk_fma_f32 v[36:37], v[154:155], s[8:9], v[36:37] op_sel:[0,0,1] op_sel_hi:[1,0,0] neg_lo:[0,0,1] neg_hi:[0,0,1]
	v_mov_b32_e32 v38, v34
	v_mov_b32_e32 v39, v37
	v_pk_mul_f32 v[72:73], v[156:157], s[16:17] op_sel_hi:[1,0]
	v_pk_add_f32 v[82:83], v[8:9], v[38:39]
	v_pk_fma_f32 v[38:39], v[158:159], s[14:15], v[72:73] op_sel:[0,0,1] op_sel_hi:[1,0,0]
	v_pk_fma_f32 v[72:73], v[158:159], s[14:15], v[72:73] op_sel:[0,0,1] op_sel_hi:[1,0,0] neg_lo:[0,0,1] neg_hi:[0,0,1]
	v_mov_b32_e32 v118, v38
	v_mov_b32_e32 v119, v73
	v_pk_add_f32 v[140:141], v[118:119], v[82:83]
	v_pk_mul_f32 v[118:119], v[160:161], s[26:27] op_sel_hi:[1,0]
	s_mov_b32 s36, 0x3f29c268
	v_pk_fma_f32 v[82:83], v[162:163], s[24:25], v[118:119] op_sel:[0,0,1] op_sel_hi:[1,0,0]
	v_pk_fma_f32 v[118:119], v[162:163], s[24:25], v[118:119] op_sel:[0,0,1] op_sel_hi:[1,0,0] neg_lo:[0,0,1] neg_hi:[0,0,1]
	v_mov_b32_e32 v142, v82
	v_mov_b32_e32 v143, v119
	v_pk_add_f32 v[144:145], v[142:143], v[140:141]
	v_pk_mul_f32 v[142:143], v[164:165], s[36:37] op_sel_hi:[1,0]
	s_mov_b32 s28, 0x3f7e222b
	;; [unrolled: 7-line block ×3, first 2 shown]
	v_pk_fma_f32 v[150:151], v[136:137], s[2:3], v[148:149] op_sel:[0,0,1] op_sel_hi:[1,0,0]
	v_pk_fma_f32 v[148:149], v[136:137], s[2:3], v[148:149] op_sel:[0,0,1] op_sel_hi:[1,0,0] neg_lo:[0,0,1] neg_hi:[0,0,1]
	v_mov_b32_e32 v168, v150
	v_mov_b32_e32 v169, v149
	v_pk_add_f32 v[144:145], v[168:169], v[144:145]
	v_pk_mul_f32 v[168:169], v[78:79], s[34:35] op_sel_hi:[1,0]
	v_pk_mul_f32 v[174:175], v[156:157], s[26:27] op_sel_hi:[1,0]
	v_pk_fma_f32 v[170:171], v[74:75], s[10:11], v[168:169] op_sel:[0,0,1] op_sel_hi:[1,0,0]
	v_pk_fma_f32 v[168:169], v[74:75], s[10:11], v[168:169] op_sel:[0,0,1] op_sel_hi:[1,0,0] neg_lo:[0,0,1] neg_hi:[0,0,1]
	v_mov_b32_e32 v172, v170
	v_mov_b32_e32 v173, v169
	v_pk_add_f32 v[144:145], v[172:173], v[144:145]
	v_pk_mul_f32 v[172:173], v[152:153], s[30:31] op_sel_hi:[1,0]
	s_mov_b32 s38, 0x3f6f5d39
	v_pk_fma_f32 v[184:185], v[154:155], s[2:3], v[172:173] op_sel:[0,0,1] op_sel_hi:[1,0,0]
	v_pk_fma_f32 v[172:173], v[154:155], s[2:3], v[172:173] op_sel:[0,0,1] op_sel_hi:[1,0,0] neg_lo:[0,0,1] neg_hi:[0,0,1]
	v_mov_b32_e32 v186, v184
	v_mov_b32_e32 v187, v173
	v_pk_fma_f32 v[188:189], v[158:159], s[24:25], v[174:175] op_sel:[0,0,1] op_sel_hi:[1,0,0]
	v_pk_fma_f32 v[174:175], v[158:159], s[24:25], v[174:175] op_sel:[0,0,1] op_sel_hi:[1,0,0] neg_lo:[0,0,1] neg_hi:[0,0,1]
	v_pk_mul_f32 v[176:177], v[160:161], s[38:39] op_sel_hi:[1,0]
	v_pk_add_f32 v[186:187], v[8:9], v[186:187]
	v_mov_b32_e32 v190, v188
	v_mov_b32_e32 v191, v175
	v_pk_add_f32 v[186:187], v[190:191], v[186:187]
	v_pk_fma_f32 v[190:191], v[162:163], s[14:15], v[176:177] op_sel:[0,0,1] op_sel_hi:[1,0,0]
	v_pk_fma_f32 v[176:177], v[162:163], s[14:15], v[176:177] op_sel:[0,0,1] op_sel_hi:[1,0,0] neg_lo:[0,0,1] neg_hi:[0,0,1]
	v_pk_mul_f32 v[178:179], v[164:165], s[34:35] op_sel_hi:[1,0]
	v_mov_b32_e32 v192, v190
	v_mov_b32_e32 v193, v177
	v_pk_add_f32 v[186:187], v[192:193], v[186:187]
	v_pk_fma_f32 v[192:193], v[166:167], s[10:11], v[178:179] op_sel:[0,0,1] op_sel_hi:[1,0,0]
	v_pk_fma_f32 v[178:179], v[166:167], s[10:11], v[178:179] op_sel:[0,0,1] op_sel_hi:[1,0,0] neg_lo:[0,0,1] neg_hi:[0,0,1]
	v_pk_mul_f32 v[180:181], v[138:139], s[22:23] op_sel_hi:[1,0]
	;; [unrolled: 6-line block ×3, first 2 shown]
	v_mov_b32_e32 v196, v194
	v_mov_b32_e32 v197, v181
	v_pk_add_f32 v[186:187], v[196:197], v[186:187]
	v_pk_fma_f32 v[196:197], v[74:75], s[18:19], v[182:183] op_sel:[0,0,1] op_sel_hi:[1,0,0]
	v_pk_fma_f32 v[182:183], v[74:75], s[18:19], v[182:183] op_sel:[0,0,1] op_sel_hi:[1,0,0] neg_lo:[0,0,1] neg_hi:[0,0,1]
	v_mov_b32_e32 v198, v196
	v_mov_b32_e32 v199, v183
	v_pk_add_f32 v[186:187], v[198:199], v[186:187]
	ds_write2_b64 v99, v[144:145], v[186:187] offset0:24 offset1:36
	v_pk_mul_f32 v[144:145], v[152:153], s[16:17] op_sel_hi:[1,0]
	v_pk_mul_f32 v[200:201], v[156:157], s[36:37] op_sel_hi:[1,0]
	v_pk_fma_f32 v[186:187], v[154:155], s[14:15], v[144:145] op_sel:[0,0,1] op_sel_hi:[1,0,0]
	v_pk_fma_f32 v[144:145], v[154:155], s[14:15], v[144:145] op_sel:[0,0,1] op_sel_hi:[1,0,0] neg_lo:[0,0,1] neg_hi:[0,0,1]
	v_mov_b32_e32 v198, v186
	v_mov_b32_e32 v199, v145
	v_pk_fma_f32 v[202:203], v[158:159], s[18:19], v[200:201] op_sel:[0,0,1] op_sel_hi:[1,0,0]
	v_pk_fma_f32 v[200:201], v[158:159], s[18:19], v[200:201] op_sel:[0,0,1] op_sel_hi:[1,0,0] neg_lo:[0,0,1] neg_hi:[0,0,1]
	v_pk_add_f32 v[198:199], v[8:9], v[198:199]
	v_mov_b32_e32 v204, v202
	v_mov_b32_e32 v205, v201
	v_pk_add_f32 v[198:199], v[204:205], v[198:199]
	v_pk_mul_f32 v[204:205], v[160:161], s[34:35] op_sel_hi:[1,0]
	s_mov_b32 s36, 0x3f52af12
	v_pk_fma_f32 v[206:207], v[162:163], s[10:11], v[204:205] op_sel:[0,0,1] op_sel_hi:[1,0,0]
	v_pk_fma_f32 v[204:205], v[162:163], s[10:11], v[204:205] op_sel:[0,0,1] op_sel_hi:[1,0,0] neg_lo:[0,0,1] neg_hi:[0,0,1]
	v_mov_b32_e32 v208, v206
	v_mov_b32_e32 v209, v205
	v_pk_add_f32 v[198:199], v[208:209], v[198:199]
	v_pk_mul_f32 v[208:209], v[164:165], s[30:31] op_sel_hi:[1,0]
	s_mov_b32 s30, 0x3e750f2a
	v_pk_fma_f32 v[210:211], v[166:167], s[2:3], v[208:209] op_sel:[0,0,1] op_sel_hi:[1,0,0]
	v_pk_fma_f32 v[208:209], v[166:167], s[2:3], v[208:209] op_sel:[0,0,1] op_sel_hi:[1,0,0] neg_lo:[0,0,1] neg_hi:[0,0,1]
	v_mov_b32_e32 v212, v210
	v_mov_b32_e32 v213, v209
	v_pk_add_f32 v[198:199], v[212:213], v[198:199]
	v_pk_mul_f32 v[212:213], v[138:139], s[30:31] op_sel_hi:[1,0]
	v_pk_mul_f32 v[222:223], v[156:157], s[28:29] op_sel_hi:[1,0]
	v_pk_fma_f32 v[214:215], v[136:137], s[24:25], v[212:213] op_sel:[0,0,1] op_sel_hi:[1,0,0]
	v_pk_fma_f32 v[212:213], v[136:137], s[24:25], v[212:213] op_sel:[0,0,1] op_sel_hi:[1,0,0] neg_lo:[0,0,1] neg_hi:[0,0,1]
	v_mov_b32_e32 v216, v214
	v_mov_b32_e32 v217, v213
	v_pk_add_f32 v[198:199], v[216:217], v[198:199]
	v_pk_mul_f32 v[216:217], v[78:79], s[36:37] op_sel_hi:[1,0]
	v_pk_fma_f32 v[236:237], v[158:159], s[2:3], v[222:223] op_sel:[0,0,1] op_sel_hi:[1,0,0]
	v_pk_fma_f32 v[218:219], v[74:75], s[8:9], v[216:217] op_sel:[0,0,1] op_sel_hi:[1,0,0]
	v_pk_fma_f32 v[216:217], v[74:75], s[8:9], v[216:217] op_sel:[0,0,1] op_sel_hi:[1,0,0] neg_lo:[0,0,1] neg_hi:[0,0,1]
	v_mov_b32_e32 v220, v218
	v_mov_b32_e32 v221, v217
	v_pk_add_f32 v[198:199], v[220:221], v[198:199]
	v_pk_mul_f32 v[220:221], v[152:153], s[20:21] op_sel_hi:[1,0]
	v_pk_fma_f32 v[222:223], v[158:159], s[2:3], v[222:223] op_sel:[0,0,1] op_sel_hi:[1,0,0] neg_lo:[0,0,1] neg_hi:[0,0,1]
	v_pk_fma_f32 v[232:233], v[154:155], s[18:19], v[220:221] op_sel:[0,0,1] op_sel_hi:[1,0,0]
	v_pk_fma_f32 v[220:221], v[154:155], s[18:19], v[220:221] op_sel:[0,0,1] op_sel_hi:[1,0,0] neg_lo:[0,0,1] neg_hi:[0,0,1]
	v_mov_b32_e32 v234, v232
	v_mov_b32_e32 v235, v221
	v_pk_mul_f32 v[224:225], v[160:161], s[22:23] op_sel_hi:[1,0]
	v_pk_add_f32 v[234:235], v[8:9], v[234:235]
	v_mov_b32_e32 v238, v236
	v_mov_b32_e32 v239, v223
	v_pk_add_f32 v[234:235], v[238:239], v[234:235]
	v_pk_fma_f32 v[238:239], v[162:163], s[8:9], v[224:225] op_sel:[0,0,1] op_sel_hi:[1,0,0]
	v_pk_fma_f32 v[224:225], v[162:163], s[8:9], v[224:225] op_sel:[0,0,1] op_sel_hi:[1,0,0] neg_lo:[0,0,1] neg_hi:[0,0,1]
	v_pk_mul_f32 v[226:227], v[164:165], s[30:31] op_sel_hi:[1,0]
	v_mov_b32_e32 v240, v238
	v_mov_b32_e32 v241, v225
	v_pk_add_f32 v[234:235], v[240:241], v[234:235]
	v_pk_fma_f32 v[240:241], v[166:167], s[24:25], v[226:227] op_sel:[0,0,1] op_sel_hi:[1,0,0]
	v_pk_fma_f32 v[226:227], v[166:167], s[24:25], v[226:227] op_sel:[0,0,1] op_sel_hi:[1,0,0] neg_lo:[0,0,1] neg_hi:[0,0,1]
	v_pk_mul_f32 v[228:229], v[138:139], s[34:35] op_sel_hi:[1,0]
	;; [unrolled: 6-line block ×3, first 2 shown]
	v_mov_b32_e32 v244, v242
	v_mov_b32_e32 v245, v229
	v_pk_add_f32 v[234:235], v[244:245], v[234:235]
	v_pk_fma_f32 v[244:245], v[74:75], s[14:15], v[230:231] op_sel:[0,0,1] op_sel_hi:[1,0,0]
	v_pk_fma_f32 v[230:231], v[74:75], s[14:15], v[230:231] op_sel:[0,0,1] op_sel_hi:[1,0,0] neg_lo:[0,0,1] neg_hi:[0,0,1]
	v_mov_b32_e32 v246, v244
	v_mov_b32_e32 v247, v231
	v_pk_add_f32 v[234:235], v[246:247], v[234:235]
	v_pk_mul_f32 v[152:153], v[152:153], s[26:27] op_sel_hi:[1,0]
	ds_write2_b64 v99, v[198:199], v[234:235] offset0:48 offset1:60
	v_pk_fma_f32 v[198:199], v[154:155], s[24:25], v[152:153] op_sel:[0,0,1] op_sel_hi:[1,0,0]
	v_pk_fma_f32 v[152:153], v[154:155], s[24:25], v[152:153] op_sel:[0,0,1] op_sel_hi:[1,0,0] neg_lo:[0,0,1] neg_hi:[0,0,1]
	v_pk_mul_f32 v[156:157], v[156:157], s[34:35] op_sel_hi:[1,0]
	v_mov_b32_e32 v154, v198
	v_mov_b32_e32 v155, v153
	v_pk_fma_f32 v[234:235], v[158:159], s[10:11], v[156:157] op_sel:[0,0,1] op_sel_hi:[1,0,0]
	v_pk_fma_f32 v[156:157], v[158:159], s[10:11], v[156:157] op_sel:[0,0,1] op_sel_hi:[1,0,0] neg_lo:[0,0,1] neg_hi:[0,0,1]
	v_pk_add_f32 v[154:155], v[8:9], v[154:155]
	v_mov_b32_e32 v158, v234
	v_mov_b32_e32 v159, v157
	v_pk_add_f32 v[154:155], v[158:159], v[154:155]
	v_pk_mul_f32 v[158:159], v[160:161], s[20:21] op_sel_hi:[1,0]
	v_pk_mul_f32 v[138:139], v[138:139], s[16:17] op_sel_hi:[1,0]
	v_pk_fma_f32 v[160:161], v[162:163], s[18:19], v[158:159] op_sel:[0,0,1] op_sel_hi:[1,0,0]
	v_pk_fma_f32 v[158:159], v[162:163], s[18:19], v[158:159] op_sel:[0,0,1] op_sel_hi:[1,0,0] neg_lo:[0,0,1] neg_hi:[0,0,1]
	v_mov_b32_e32 v162, v160
	v_mov_b32_e32 v163, v159
	v_pk_add_f32 v[154:155], v[162:163], v[154:155]
	v_pk_mul_f32 v[162:163], v[164:165], s[36:37] op_sel_hi:[1,0]
	v_pk_mul_f32 v[78:79], v[78:79], s[28:29] op_sel_hi:[1,0]
	v_pk_fma_f32 v[164:165], v[166:167], s[8:9], v[162:163] op_sel:[0,0,1] op_sel_hi:[1,0,0]
	v_pk_fma_f32 v[162:163], v[166:167], s[8:9], v[162:163] op_sel:[0,0,1] op_sel_hi:[1,0,0] neg_lo:[0,0,1] neg_hi:[0,0,1]
	v_mov_b32_e32 v166, v164
	v_mov_b32_e32 v167, v163
	v_pk_add_f32 v[154:155], v[166:167], v[154:155]
	v_pk_fma_f32 v[166:167], v[136:137], s[14:15], v[138:139] op_sel:[0,0,1] op_sel_hi:[1,0,0]
	v_pk_fma_f32 v[136:137], v[136:137], s[14:15], v[138:139] op_sel:[0,0,1] op_sel_hi:[1,0,0] neg_lo:[0,0,1] neg_hi:[0,0,1]
	v_mov_b32_e32 v138, v166
	v_mov_b32_e32 v139, v137
	v_pk_add_f32 v[138:139], v[138:139], v[154:155]
	v_pk_fma_f32 v[154:155], v[74:75], s[2:3], v[78:79] op_sel:[0,0,1] op_sel_hi:[1,0,0]
	v_pk_fma_f32 v[74:75], v[74:75], s[2:3], v[78:79] op_sel:[0,0,1] op_sel_hi:[1,0,0] neg_lo:[0,0,1] neg_hi:[0,0,1]
	v_mov_b32_e32 v78, v154
	v_mov_b32_e32 v79, v75
	;; [unrolled: 1-line block ×3, first 2 shown]
	v_pk_add_f32 v[78:79], v[78:79], v[138:139]
	v_pk_add_f32 v[138:139], v[8:9], v[152:153]
	v_mov_b32_e32 v157, v235
	v_pk_add_f32 v[138:139], v[156:157], v[138:139]
	v_mov_b32_e32 v159, v161
	;; [unrolled: 2-line block ×6, first 2 shown]
	v_mov_b32_e32 v145, v187
	ds_write2_b64 v99, v[78:79], v[74:75] offset0:72 offset1:84
	v_pk_add_f32 v[74:75], v[8:9], v[220:221]
	v_mov_b32_e32 v223, v237
	v_pk_add_f32 v[78:79], v[8:9], v[144:145]
	v_mov_b32_e32 v201, v203
	;; [unrolled: 2-line block ×10, first 2 shown]
	v_pk_add_f32 v[74:75], v[230:231], v[74:75]
	v_pk_add_f32 v[78:79], v[216:217], v[78:79]
	v_mov_b32_e32 v173, v185
	v_mov_b32_e32 v37, v35
	;; [unrolled: 1-line block ×3, first 2 shown]
	ds_write2_b64 v99, v[74:75], v[78:79] offset0:96 offset1:108
	v_pk_add_f32 v[74:75], v[8:9], v[172:173]
	v_mov_b32_e32 v175, v189
	v_pk_add_f32 v[34:35], v[8:9], v[36:37]
	v_mov_b32_e32 v73, v39
	;; [unrolled: 2-line block ×15, first 2 shown]
	v_pk_add_f32 v[74:75], v[182:183], v[74:75]
	v_pk_add_f32 v[34:35], v[168:169], v[34:35]
	;; [unrolled: 1-line block ×3, first 2 shown]
	ds_write2_b64 v99, v[74:75], v[34:35] offset0:120 offset1:132
	ds_write_b64 v99, v[4:5] offset:1152
.LBB0_9:
	s_or_b64 exec, exec, s[0:1]
	v_add_u32_e32 v72, 0xc00, v110
	s_waitcnt lgkmcnt(0)
	s_barrier
	ds_read2_b64 v[8:11], v72 offset0:84 offset1:201
	v_add_u32_e32 v73, 0x1c00, v110
	ds_read2_b64 v[20:23], v73 offset0:40 offset1:157
	v_add_u32_e32 v74, 0x2400, v110
	ds_read2_b64 v[32:35], v74 offset0:18 offset1:135
	s_waitcnt lgkmcnt(2)
	v_pk_mul_f32 v[12:13], v[48:49], v[8:9]
	s_mov_b32 s0, 0x3f5db3d7
	v_pk_fma_f32 v[36:37], v[134:135], v[8:9], v[12:13] op_sel:[0,0,1] op_sel_hi:[1,1,0]
	v_pk_fma_f32 v[8:9], v[134:135], v[8:9], v[12:13] op_sel:[0,0,1] op_sel_hi:[1,1,0] neg_lo:[0,0,1] neg_hi:[0,0,1]
	ds_read2_b64 v[16:19], v110 offset1:117
	v_mov_b32_e32 v37, v9
	s_waitcnt lgkmcnt(2)
	v_pk_mul_f32 v[8:9], v[50:51], v[20:21]
	v_add_u32_e32 v50, 0x1400, v110
	ds_read2_b64 v[24:27], v50 offset0:62 offset1:179
	v_pk_fma_f32 v[12:13], v[132:133], v[20:21], v[8:9] op_sel:[0,0,1] op_sel_hi:[1,1,0]
	v_pk_fma_f32 v[8:9], v[132:133], v[20:21], v[8:9] op_sel:[0,0,1] op_sel_hi:[1,1,0] neg_lo:[0,0,1] neg_hi:[0,0,1]
	v_add_u32_e32 v51, 0x400, v110
	ds_read2_b64 v[28:31], v51 offset0:106 offset1:223
	s_waitcnt lgkmcnt(1)
	v_pk_mul_f32 v[20:21], v[52:53], v[26:27]
	v_mov_b32_e32 v13, v9
	v_pk_fma_f32 v[38:39], v[130:131], v[26:27], v[20:21] op_sel:[0,0,1] op_sel_hi:[1,1,0]
	v_pk_fma_f32 v[20:21], v[130:131], v[26:27], v[20:21] op_sel:[0,0,1] op_sel_hi:[1,1,0] neg_lo:[0,0,1] neg_hi:[0,0,1]
	v_pk_add_f32 v[8:9], v[16:17], v[36:37]
	v_mov_b32_e32 v39, v21
	v_pk_mul_f32 v[20:21], v[54:55], v[34:35]
	v_pk_add_f32 v[8:9], v[8:9], v[12:13]
	v_pk_fma_f32 v[26:27], v[128:129], v[34:35], v[20:21] op_sel:[0,0,1] op_sel_hi:[1,1,0]
	v_pk_fma_f32 v[20:21], v[128:129], v[34:35], v[20:21] op_sel:[0,0,1] op_sel_hi:[1,1,0] neg_lo:[0,0,1] neg_hi:[0,0,1]
	s_waitcnt lgkmcnt(0)
	v_mov_b32_e32 v27, v21
	v_pk_add_f32 v[20:21], v[38:39], v[26:27]
	v_pk_add_f32 v[34:35], v[38:39], v[26:27] neg_lo:[0,1] neg_hi:[0,1]
	v_pk_fma_f32 v[20:21], v[20:21], 0.5, v[30:31] op_sel_hi:[1,0,1] neg_lo:[1,0,0] neg_hi:[1,0,0]
	v_pk_mul_f32 v[34:35], v[34:35], s[0:1] op_sel_hi:[1,0]
	s_barrier
	v_pk_add_f32 v[48:49], v[20:21], v[34:35] op_sel:[0,1] op_sel_hi:[1,0]
	v_pk_add_f32 v[20:21], v[20:21], v[34:35] op_sel:[0,1] op_sel_hi:[1,0] neg_lo:[0,1] neg_hi:[0,1]
	v_pk_mul_f32 v[34:35], v[44:45], v[24:25]
	s_nop 0
	v_pk_fma_f32 v[44:45], v[126:127], v[24:25], v[34:35] op_sel:[0,0,1] op_sel_hi:[1,1,0]
	v_pk_fma_f32 v[24:25], v[126:127], v[24:25], v[34:35] op_sel:[0,0,1] op_sel_hi:[1,1,0] neg_lo:[0,0,1] neg_hi:[0,0,1]
	v_mov_b32_e32 v4, s12
	v_mov_b32_e32 v45, v25
	v_pk_mul_f32 v[24:25], v[46:47], v[32:33]
	v_mov_b32_e32 v5, s13
	v_pk_fma_f32 v[34:35], v[124:125], v[32:33], v[24:25] op_sel:[0,0,1] op_sel_hi:[1,1,0]
	v_pk_fma_f32 v[24:25], v[124:125], v[32:33], v[24:25] op_sel:[0,0,1] op_sel_hi:[1,1,0] neg_lo:[0,0,1] neg_hi:[0,0,1]
	s_nop 0
	v_mov_b32_e32 v35, v25
	v_pk_add_f32 v[24:25], v[44:45], v[34:35]
	v_pk_add_f32 v[32:33], v[44:45], v[34:35] neg_lo:[0,1] neg_hi:[0,1]
	v_pk_fma_f32 v[24:25], v[24:25], 0.5, v[28:29] op_sel_hi:[1,0,1] neg_lo:[1,0,0] neg_hi:[1,0,0]
	v_pk_mul_f32 v[32:33], v[32:33], s[0:1] op_sel_hi:[1,0]
	s_nop 0
	v_pk_add_f32 v[46:47], v[24:25], v[32:33] op_sel:[0,1] op_sel_hi:[1,0]
	v_pk_add_f32 v[24:25], v[24:25], v[32:33] op_sel:[0,1] op_sel_hi:[1,0] neg_lo:[0,1] neg_hi:[0,1]
	v_pk_mul_f32 v[32:33], v[40:41], v[10:11]
	s_nop 0
	v_pk_fma_f32 v[40:41], v[122:123], v[10:11], v[32:33] op_sel:[0,0,1] op_sel_hi:[1,1,0]
	v_pk_fma_f32 v[10:11], v[122:123], v[10:11], v[32:33] op_sel:[0,0,1] op_sel_hi:[1,1,0] neg_lo:[0,0,1] neg_hi:[0,0,1]
	s_nop 0
	v_mov_b32_e32 v41, v11
	v_pk_mul_f32 v[10:11], v[42:43], v[22:23]
	s_nop 0
	v_pk_fma_f32 v[32:33], v[120:121], v[22:23], v[10:11] op_sel:[0,0,1] op_sel_hi:[1,1,0]
	v_pk_fma_f32 v[10:11], v[120:121], v[22:23], v[10:11] op_sel:[0,0,1] op_sel_hi:[1,1,0] neg_lo:[0,0,1] neg_hi:[0,0,1]
	v_pk_add_f32 v[22:23], v[36:37], v[12:13]
	v_pk_add_f32 v[12:13], v[36:37], v[12:13] neg_lo:[0,1] neg_hi:[0,1]
	v_pk_fma_f32 v[16:17], v[22:23], 0.5, v[16:17] op_sel_hi:[1,0,1] neg_lo:[1,0,0] neg_hi:[1,0,0]
	v_pk_mul_f32 v[12:13], v[12:13], s[0:1] op_sel_hi:[1,0]
	v_mov_b32_e32 v33, v11
	v_pk_add_f32 v[22:23], v[16:17], v[12:13] op_sel:[0,1] op_sel_hi:[1,0]
	v_pk_add_f32 v[12:13], v[16:17], v[12:13] op_sel:[0,1] op_sel_hi:[1,0] neg_lo:[0,1] neg_hi:[0,1]
	v_mov_b32_e32 v17, v23
	v_mov_b32_e32 v16, v12
	ds_write2_b64 v110, v[8:9], v[16:17] offset1:156
	v_mov_b32_e32 v23, v13
	v_pk_add_f32 v[8:9], v[40:41], v[32:33]
	v_pk_add_f32 v[12:13], v[40:41], v[32:33] neg_lo:[0,1] neg_hi:[0,1]
	v_pk_fma_f32 v[8:9], v[8:9], 0.5, v[18:19] op_sel_hi:[1,0,1] neg_lo:[1,0,0] neg_hi:[1,0,0]
	v_pk_mul_f32 v[12:13], v[12:13], s[0:1] op_sel_hi:[1,0]
	v_pk_add_f32 v[10:11], v[18:19], v[40:41]
	v_pk_add_f32 v[16:17], v[8:9], v[12:13] op_sel:[0,1] op_sel_hi:[1,0] neg_lo:[0,1] neg_hi:[0,1]
	v_pk_add_f32 v[8:9], v[8:9], v[12:13] op_sel:[0,1] op_sel_hi:[1,0]
	v_pk_add_f32 v[10:11], v[10:11], v[32:33]
	v_mov_b32_e32 v13, v9
	v_mov_b32_e32 v9, v17
	ds_write_b64 v110, v[22:23] offset:2496
	v_mov_b32_e32 v12, v16
	ds_write_b64 v147, v[8:9] offset:2496
	v_pk_add_f32 v[8:9], v[28:29], v[44:45]
	ds_write2_b64 v147, v[10:11], v[12:13] offset1:156
	v_pk_add_f32 v[8:9], v[8:9], v[34:35]
	v_mov_b32_e32 v10, v24
	v_mov_b32_e32 v11, v47
	ds_write2_b64 v146, v[8:9], v[10:11] offset1:156
	v_pk_add_f32 v[8:9], v[30:31], v[38:39]
	v_mov_b32_e32 v47, v25
	v_pk_add_f32 v[8:9], v[8:9], v[26:27]
	v_mov_b32_e32 v10, v20
	v_mov_b32_e32 v11, v49
	v_add_u32_e32 v12, 0x1c00, v87
	v_mov_b32_e32 v49, v21
	ds_write_b64 v146, v[46:47] offset:2496
	ds_write2_b64 v12, v[8:9], v[10:11] offset0:40 offset1:196
	ds_write_b64 v87, v[48:49] offset:9984
	s_waitcnt lgkmcnt(0)
	s_barrier
	ds_read2_b64 v[8:11], v72 offset0:84 offset1:201
	ds_read2_b64 v[16:19], v110 offset1:117
	ds_read2_b64 v[20:23], v73 offset0:40 offset1:157
	v_mad_u64_u32 v[12:13], s[2:3], s6, v98, 0
	s_waitcnt lgkmcnt(2)
	v_pk_mul_f32 v[24:25], v[68:69], v[8:9]
	s_nop 0
	v_pk_fma_f32 v[28:29], v[116:117], v[8:9], v[24:25] op_sel:[0,0,1] op_sel_hi:[1,1,0]
	v_pk_fma_f32 v[8:9], v[116:117], v[8:9], v[24:25] op_sel:[0,0,1] op_sel_hi:[1,1,0] neg_lo:[0,0,1] neg_hi:[0,0,1]
	s_nop 0
	v_mov_b32_e32 v29, v9
	s_waitcnt lgkmcnt(0)
	v_pk_mul_f32 v[8:9], v[70:71], v[20:21]
	s_nop 0
	v_pk_fma_f32 v[30:31], v[114:115], v[20:21], v[8:9] op_sel:[0,0,1] op_sel_hi:[1,1,0]
	v_pk_fma_f32 v[8:9], v[114:115], v[20:21], v[8:9] op_sel:[0,0,1] op_sel_hi:[1,1,0] neg_lo:[0,0,1] neg_hi:[0,0,1]
	s_nop 0
	v_mov_b32_e32 v31, v9
	v_pk_add_f32 v[8:9], v[16:17], v[28:29]
	s_nop 0
	v_pk_add_f32 v[32:33], v[8:9], v[30:31]
	v_pk_mul_f32 v[8:9], v[64:65], v[10:11]
	s_nop 0
	v_pk_fma_f32 v[34:35], v[80:81], v[10:11], v[8:9] op_sel:[0,0,1] op_sel_hi:[1,1,0]
	v_pk_fma_f32 v[8:9], v[80:81], v[10:11], v[8:9] op_sel:[0,0,1] op_sel_hi:[1,1,0] neg_lo:[0,0,1] neg_hi:[0,0,1]
	s_nop 0
	v_mov_b32_e32 v35, v9
	v_pk_mul_f32 v[8:9], v[66:67], v[22:23]
	v_pk_add_f32 v[20:21], v[18:19], v[34:35]
	v_pk_fma_f32 v[36:37], v[76:77], v[22:23], v[8:9] op_sel:[0,0,1] op_sel_hi:[1,1,0]
	v_pk_fma_f32 v[8:9], v[76:77], v[22:23], v[8:9] op_sel:[0,0,1] op_sel_hi:[1,1,0] neg_lo:[0,0,1] neg_hi:[0,0,1]
	s_nop 0
	v_mov_b32_e32 v37, v9
	ds_read2_b64 v[8:11], v50 offset0:62 offset1:179
	v_pk_add_f32 v[38:39], v[20:21], v[36:37]
	ds_read2_b64 v[20:23], v51 offset0:106 offset1:223
	ds_read2_b64 v[24:27], v74 offset0:18 offset1:135
	s_waitcnt lgkmcnt(2)
	v_pk_mul_f32 v[40:41], v[60:61], v[8:9]
	s_nop 0
	v_pk_fma_f32 v[42:43], v[14:15], v[8:9], v[40:41] op_sel:[0,0,1] op_sel_hi:[1,1,0]
	v_pk_fma_f32 v[8:9], v[14:15], v[8:9], v[40:41] op_sel:[0,0,1] op_sel_hi:[1,1,0] neg_lo:[0,0,1] neg_hi:[0,0,1]
	s_nop 0
	v_mov_b32_e32 v43, v9
	s_waitcnt lgkmcnt(0)
	v_pk_mul_f32 v[8:9], v[62:63], v[24:25]
	s_nop 0
	v_pk_fma_f32 v[14:15], v[6:7], v[24:25], v[8:9] op_sel:[0,0,1] op_sel_hi:[1,1,0]
	v_pk_fma_f32 v[6:7], v[6:7], v[24:25], v[8:9] op_sel:[0,0,1] op_sel_hi:[1,1,0] neg_lo:[0,0,1] neg_hi:[0,0,1]
	v_pk_mul_f32 v[8:9], v[56:57], v[10:11]
	v_mov_b32_e32 v15, v7
	v_pk_fma_f32 v[24:25], v[2:3], v[10:11], v[8:9] op_sel:[0,0,1] op_sel_hi:[1,1,0]
	v_pk_fma_f32 v[2:3], v[2:3], v[10:11], v[8:9] op_sel:[0,0,1] op_sel_hi:[1,1,0] neg_lo:[0,0,1] neg_hi:[0,0,1]
	v_pk_add_f32 v[10:11], v[28:29], v[30:31] neg_lo:[0,1] neg_hi:[0,1]
	v_mov_b32_e32 v25, v3
	v_pk_mul_f32 v[2:3], v[58:59], v[26:27]
	v_pk_mul_f32 v[10:11], v[10:11], s[0:1] op_sel_hi:[1,0]
	v_pk_fma_f32 v[8:9], v[0:1], v[26:27], v[2:3] op_sel:[0,0,1] op_sel_hi:[1,1,0]
	v_pk_fma_f32 v[0:1], v[0:1], v[26:27], v[2:3] op_sel:[0,0,1] op_sel_hi:[1,1,0] neg_lo:[0,0,1] neg_hi:[0,0,1]
	v_pk_add_f32 v[2:3], v[28:29], v[30:31]
	v_pk_add_f32 v[6:7], v[20:21], v[42:43]
	v_pk_fma_f32 v[2:3], v[2:3], 0.5, v[16:17] op_sel_hi:[1,0,1] neg_lo:[1,0,0] neg_hi:[1,0,0]
	v_pk_add_f32 v[6:7], v[6:7], v[14:15]
	v_pk_add_f32 v[16:17], v[2:3], v[10:11] op_sel:[0,1] op_sel_hi:[1,0] neg_lo:[0,1] neg_hi:[0,1]
	v_pk_add_f32 v[2:3], v[2:3], v[10:11] op_sel:[0,1] op_sel_hi:[1,0]
	v_mov_b32_e32 v10, v16
	v_mov_b32_e32 v11, v3
	;; [unrolled: 1-line block ×3, first 2 shown]
	ds_write_b64 v110, v[10:11] offset:3744
	ds_write_b64 v110, v[2:3] offset:7488
	ds_write2_b64 v110, v[32:33], v[38:39] offset1:117
	v_pk_add_f32 v[2:3], v[34:35], v[36:37]
	v_pk_add_f32 v[10:11], v[34:35], v[36:37] neg_lo:[0,1] neg_hi:[0,1]
	v_pk_fma_f32 v[2:3], v[2:3], 0.5, v[18:19] op_sel_hi:[1,0,1] neg_lo:[1,0,0] neg_hi:[1,0,0]
	v_pk_mul_f32 v[10:11], v[10:11], s[0:1] op_sel_hi:[1,0]
	v_mov_b32_e32 v9, v1
	v_pk_add_f32 v[16:17], v[2:3], v[10:11] op_sel:[0,1] op_sel_hi:[1,0] neg_lo:[0,1] neg_hi:[0,1]
	v_pk_add_f32 v[2:3], v[2:3], v[10:11] op_sel:[0,1] op_sel_hi:[1,0]
	v_mov_b32_e32 v11, v17
	v_mov_b32_e32 v10, v2
	ds_write_b64 v110, v[10:11] offset:8424
	v_mov_b32_e32 v17, v3
	v_pk_add_f32 v[2:3], v[42:43], v[14:15]
	v_pk_add_f32 v[10:11], v[42:43], v[14:15] neg_lo:[0,1] neg_hi:[0,1]
	v_pk_fma_f32 v[2:3], v[2:3], 0.5, v[20:21] op_sel_hi:[1,0,1] neg_lo:[1,0,0] neg_hi:[1,0,0]
	v_pk_mul_f32 v[10:11], v[10:11], s[0:1] op_sel_hi:[1,0]
	v_pk_add_f32 v[0:1], v[22:23], v[24:25]
	v_pk_add_f32 v[14:15], v[2:3], v[10:11] op_sel:[0,1] op_sel_hi:[1,0] neg_lo:[0,1] neg_hi:[0,1]
	v_pk_add_f32 v[2:3], v[2:3], v[10:11] op_sel:[0,1] op_sel_hi:[1,0]
	v_pk_add_f32 v[0:1], v[0:1], v[8:9]
	v_mov_b32_e32 v10, v14
	v_mov_b32_e32 v11, v3
	v_add_u32_e32 v3, 0x1000, v110
	ds_write2_b64 v3, v[16:17], v[10:11] offset0:73 offset1:190
	ds_write2_b64 v51, v[6:7], v[0:1] offset0:106 offset1:223
	v_pk_add_f32 v[0:1], v[24:25], v[8:9]
	v_pk_add_f32 v[6:7], v[24:25], v[8:9] neg_lo:[0,1] neg_hi:[0,1]
	v_pk_fma_f32 v[0:1], v[0:1], 0.5, v[22:23] op_sel_hi:[1,0,1] neg_lo:[1,0,0] neg_hi:[1,0,0]
	v_pk_mul_f32 v[6:7], v[6:7], s[0:1] op_sel_hi:[1,0]
	v_mov_b32_e32 v3, v15
	v_pk_add_f32 v[8:9], v[0:1], v[6:7] op_sel:[0,1] op_sel_hi:[1,0] neg_lo:[0,1] neg_hi:[0,1]
	v_pk_add_f32 v[0:1], v[0:1], v[6:7] op_sel:[0,1] op_sel_hi:[1,0]
	v_mov_b32_e32 v6, v8
	v_mov_b32_e32 v7, v1
	;; [unrolled: 1-line block ×3, first 2 shown]
	ds_write_b64 v110, v[6:7] offset:6552
	ds_write2_b64 v74, v[2:3], v[0:1] offset0:18 offset1:135
	s_waitcnt lgkmcnt(0)
	s_barrier
	ds_read2_b64 v[0:3], v110 offset1:117
	v_mov_b32_e32 v6, v13
	v_mad_u64_u32 v[6:7], s[0:1], s7, v98, v[6:7]
	v_mov_b32_e32 v13, v6
	s_waitcnt lgkmcnt(0)
	v_mul_f32_e32 v6, v113, v1
	v_fmac_f32_e32 v6, v112, v0
	v_mul_f32_e32 v0, v113, v0
	s_mov_b32 s0, 0xc201756d
	v_fma_f32 v0, v112, v1, -v0
	s_mov_b32 s1, 0x3f4756ca
	v_cvt_f64_f32_e32 v[0:1], v0
	v_cvt_f64_f32_e32 v[6:7], v6
	v_mul_f64 v[0:1], v[0:1], s[0:1]
	v_mul_f64 v[6:7], v[6:7], s[0:1]
	v_cvt_f32_f64_e32 v11, v[0:1]
	v_mad_u64_u32 v[0:1], s[2:3], s4, v86, 0
	v_cvt_f32_f64_e32 v10, v[6:7]
	v_mov_b32_e32 v6, v1
	v_mad_u64_u32 v[14:15], s[2:3], s5, v86, v[6:7]
	ds_read2_b64 v[6:9], v50 offset0:62 offset1:179
	v_mov_b32_e32 v1, v14
	v_lshl_add_u64 v[4:5], v[12:13], 3, v[4:5]
	v_lshl_add_u64 v[0:1], v[0:1], 3, v[4:5]
	v_mov_b32_e32 v12, 0x15f0
	s_waitcnt lgkmcnt(0)
	v_mul_f32_e32 v4, v103, v7
	v_fmac_f32_e32 v4, v102, v6
	v_cvt_f64_f32_e32 v[4:5], v4
	v_mul_f64 v[4:5], v[4:5], s[0:1]
	v_cvt_f32_f64_e32 v4, v[4:5]
	v_mul_f32_e32 v5, v103, v6
	v_fma_f32 v5, v102, v7, -v5
	global_store_dwordx2 v[0:1], v[10:11], off
	v_cvt_f64_f32_e32 v[6:7], v5
	v_mad_u64_u32 v[0:1], s[2:3], s4, v12, v[0:1]
	v_mul_f64 v[6:7], v[6:7], s[0:1]
	s_mul_i32 s2, s5, 0x15f0
	v_cvt_f32_f64_e32 v5, v[6:7]
	v_add_u32_e32 v1, s2, v1
	global_store_dwordx2 v[0:1], v[4:5], off
	v_mul_f32_e32 v4, v105, v3
	v_fmac_f32_e32 v4, v104, v2
	v_mul_f32_e32 v2, v105, v2
	v_mov_b32_e32 v13, 0xffffedb8
	v_fma_f32 v2, v104, v3, -v2
	v_mad_u64_u32 v[6:7], s[6:7], s4, v13, v[0:1]
	v_mul_f32_e32 v0, v109, v9
	v_cvt_f64_f32_e32 v[4:5], v4
	v_cvt_f64_f32_e32 v[2:3], v2
	s_mul_i32 s3, s5, 0xffffedb8
	v_fmac_f32_e32 v0, v108, v8
	v_mul_f64 v[4:5], v[4:5], s[0:1]
	v_mul_f64 v[2:3], v[2:3], s[0:1]
	s_sub_i32 s3, s3, s4
	v_cvt_f64_f32_e32 v[0:1], v0
	v_cvt_f32_f64_e32 v4, v[4:5]
	v_cvt_f32_f64_e32 v5, v[2:3]
	v_add_u32_e32 v7, s3, v7
	v_mul_f64 v[0:1], v[0:1], s[0:1]
	global_store_dwordx2 v[6:7], v[4:5], off
	v_cvt_f32_f64_e32 v4, v[0:1]
	v_mul_f32_e32 v0, v109, v8
	v_fma_f32 v0, v108, v9, -v0
	v_cvt_f64_f32_e32 v[0:1], v0
	v_mul_f64 v[0:1], v[0:1], s[0:1]
	v_cvt_f32_f64_e32 v5, v[0:1]
	ds_read2_b64 v[0:3], v51 offset0:106 offset1:223
	v_mad_u64_u32 v[8:9], s[6:7], s4, v12, v[6:7]
	v_add_u32_e32 v9, s2, v9
	global_store_dwordx2 v[8:9], v[4:5], off
	s_waitcnt lgkmcnt(0)
	v_mul_f32_e32 v4, v107, v1
	v_fmac_f32_e32 v4, v106, v0
	v_cvt_f64_f32_e32 v[4:5], v4
	v_mul_f64 v[4:5], v[4:5], s[0:1]
	v_cvt_f32_f64_e32 v10, v[4:5]
	ds_read2_b64 v[4:7], v73 offset0:40 offset1:157
	v_mul_f32_e32 v0, v107, v0
	v_fma_f32 v0, v106, v1, -v0
	v_cvt_f64_f32_e32 v[0:1], v0
	v_mul_f64 v[0:1], v[0:1], s[0:1]
	v_cvt_f32_f64_e32 v11, v[0:1]
	v_mad_u64_u32 v[0:1], s[6:7], s4, v13, v[8:9]
	s_waitcnt lgkmcnt(0)
	v_mul_f32_e32 v8, v95, v5
	v_fmac_f32_e32 v8, v94, v4
	v_mul_f32_e32 v4, v95, v4
	v_fma_f32 v4, v94, v5, -v4
	v_cvt_f64_f32_e32 v[8:9], v8
	v_cvt_f64_f32_e32 v[4:5], v4
	v_add_u32_e32 v1, s3, v1
	v_mul_f64 v[8:9], v[8:9], s[0:1]
	v_mul_f64 v[4:5], v[4:5], s[0:1]
	global_store_dwordx2 v[0:1], v[10:11], off
	v_cvt_f32_f64_e32 v8, v[8:9]
	v_cvt_f32_f64_e32 v9, v[4:5]
	v_mad_u64_u32 v[0:1], s[6:7], s4, v12, v[0:1]
	v_mul_f32_e32 v4, v97, v3
	v_add_u32_e32 v1, s2, v1
	v_fmac_f32_e32 v4, v96, v2
	v_mul_f32_e32 v2, v97, v2
	global_store_dwordx2 v[0:1], v[8:9], off
	v_fma_f32 v2, v96, v3, -v2
	v_mad_u64_u32 v[8:9], s[6:7], s4, v13, v[0:1]
	v_mul_f32_e32 v0, v101, v7
	v_cvt_f64_f32_e32 v[4:5], v4
	v_cvt_f64_f32_e32 v[2:3], v2
	v_fmac_f32_e32 v0, v100, v6
	v_mul_f64 v[4:5], v[4:5], s[0:1]
	v_mul_f64 v[2:3], v[2:3], s[0:1]
	v_cvt_f64_f32_e32 v[0:1], v0
	v_cvt_f32_f64_e32 v4, v[4:5]
	v_cvt_f32_f64_e32 v5, v[2:3]
	v_add_u32_e32 v9, s3, v9
	v_mul_f64 v[0:1], v[0:1], s[0:1]
	global_store_dwordx2 v[8:9], v[4:5], off
	v_cvt_f32_f64_e32 v4, v[0:1]
	v_mul_f32_e32 v0, v101, v6
	v_fma_f32 v0, v100, v7, -v0
	v_cvt_f64_f32_e32 v[0:1], v0
	v_mul_f64 v[0:1], v[0:1], s[0:1]
	v_cvt_f32_f64_e32 v5, v[0:1]
	ds_read2_b64 v[0:3], v72 offset0:84 offset1:201
	v_mad_u64_u32 v[8:9], s[6:7], s4, v12, v[8:9]
	v_add_u32_e32 v9, s2, v9
	global_store_dwordx2 v[8:9], v[4:5], off
	s_waitcnt lgkmcnt(0)
	v_mul_f32_e32 v4, v93, v1
	v_fmac_f32_e32 v4, v92, v0
	v_cvt_f64_f32_e32 v[4:5], v4
	v_mul_f64 v[4:5], v[4:5], s[0:1]
	v_cvt_f32_f64_e32 v10, v[4:5]
	ds_read2_b64 v[4:7], v74 offset0:18 offset1:135
	v_mul_f32_e32 v0, v93, v0
	v_fma_f32 v0, v92, v1, -v0
	v_cvt_f64_f32_e32 v[0:1], v0
	v_mul_f64 v[0:1], v[0:1], s[0:1]
	v_cvt_f32_f64_e32 v11, v[0:1]
	v_mad_u64_u32 v[0:1], s[6:7], s4, v13, v[8:9]
	s_waitcnt lgkmcnt(0)
	v_mul_f32_e32 v8, v91, v5
	v_fmac_f32_e32 v8, v90, v4
	v_mul_f32_e32 v4, v91, v4
	v_fma_f32 v4, v90, v5, -v4
	v_cvt_f64_f32_e32 v[8:9], v8
	v_cvt_f64_f32_e32 v[4:5], v4
	v_mul_f64 v[8:9], v[8:9], s[0:1]
	v_mul_f64 v[4:5], v[4:5], s[0:1]
	v_cvt_f32_f64_e32 v8, v[8:9]
	v_cvt_f32_f64_e32 v9, v[4:5]
	v_mul_f32_e32 v4, v89, v3
	v_fmac_f32_e32 v4, v88, v2
	v_mul_f32_e32 v2, v89, v2
	v_fma_f32 v2, v88, v3, -v2
	v_cvt_f64_f32_e32 v[4:5], v4
	v_cvt_f64_f32_e32 v[2:3], v2
	v_mul_f64 v[4:5], v[4:5], s[0:1]
	v_mul_f64 v[2:3], v[2:3], s[0:1]
	v_cvt_f32_f64_e32 v4, v[4:5]
	v_cvt_f32_f64_e32 v5, v[2:3]
	v_mul_f32_e32 v2, v85, v7
	v_add_u32_e32 v1, s3, v1
	v_fmac_f32_e32 v2, v84, v6
	global_store_dwordx2 v[0:1], v[10:11], off
	v_mad_u64_u32 v[0:1], s[6:7], s4, v12, v[0:1]
	v_cvt_f64_f32_e32 v[2:3], v2
	v_add_u32_e32 v1, s2, v1
	v_mul_f64 v[2:3], v[2:3], s[0:1]
	global_store_dwordx2 v[0:1], v[8:9], off
	v_mad_u64_u32 v[0:1], s[6:7], s4, v13, v[0:1]
	v_cvt_f32_f64_e32 v2, v[2:3]
	v_mul_f32_e32 v3, v85, v6
	v_add_u32_e32 v1, s3, v1
	v_fma_f32 v3, v84, v7, -v3
	global_store_dwordx2 v[0:1], v[4:5], off
	v_cvt_f64_f32_e32 v[4:5], v3
	v_mul_f64 v[4:5], v[4:5], s[0:1]
	v_mad_u64_u32 v[0:1], s[0:1], s4, v12, v[0:1]
	v_cvt_f32_f64_e32 v3, v[4:5]
	v_add_u32_e32 v1, s2, v1
	global_store_dwordx2 v[0:1], v[2:3], off
.LBB0_10:
	s_endpgm
	.section	.rodata,"a",@progbits
	.p2align	6, 0x0
	.amdhsa_kernel bluestein_single_fwd_len1404_dim1_sp_op_CI_CI
		.amdhsa_group_segment_fixed_size 11232
		.amdhsa_private_segment_fixed_size 0
		.amdhsa_kernarg_size 104
		.amdhsa_user_sgpr_count 2
		.amdhsa_user_sgpr_dispatch_ptr 0
		.amdhsa_user_sgpr_queue_ptr 0
		.amdhsa_user_sgpr_kernarg_segment_ptr 1
		.amdhsa_user_sgpr_dispatch_id 0
		.amdhsa_user_sgpr_kernarg_preload_length 0
		.amdhsa_user_sgpr_kernarg_preload_offset 0
		.amdhsa_user_sgpr_private_segment_size 0
		.amdhsa_uses_dynamic_stack 0
		.amdhsa_enable_private_segment 0
		.amdhsa_system_sgpr_workgroup_id_x 1
		.amdhsa_system_sgpr_workgroup_id_y 0
		.amdhsa_system_sgpr_workgroup_id_z 0
		.amdhsa_system_sgpr_workgroup_info 0
		.amdhsa_system_vgpr_workitem_id 0
		.amdhsa_next_free_vgpr 248
		.amdhsa_next_free_sgpr 46
		.amdhsa_accum_offset 248
		.amdhsa_reserve_vcc 1
		.amdhsa_float_round_mode_32 0
		.amdhsa_float_round_mode_16_64 0
		.amdhsa_float_denorm_mode_32 3
		.amdhsa_float_denorm_mode_16_64 3
		.amdhsa_dx10_clamp 1
		.amdhsa_ieee_mode 1
		.amdhsa_fp16_overflow 0
		.amdhsa_tg_split 0
		.amdhsa_exception_fp_ieee_invalid_op 0
		.amdhsa_exception_fp_denorm_src 0
		.amdhsa_exception_fp_ieee_div_zero 0
		.amdhsa_exception_fp_ieee_overflow 0
		.amdhsa_exception_fp_ieee_underflow 0
		.amdhsa_exception_fp_ieee_inexact 0
		.amdhsa_exception_int_div_zero 0
	.end_amdhsa_kernel
	.text
.Lfunc_end0:
	.size	bluestein_single_fwd_len1404_dim1_sp_op_CI_CI, .Lfunc_end0-bluestein_single_fwd_len1404_dim1_sp_op_CI_CI
                                        ; -- End function
	.section	.AMDGPU.csdata,"",@progbits
; Kernel info:
; codeLenInByte = 15400
; NumSgprs: 52
; NumVgprs: 248
; NumAgprs: 0
; TotalNumVgprs: 248
; ScratchSize: 0
; MemoryBound: 0
; FloatMode: 240
; IeeeMode: 1
; LDSByteSize: 11232 bytes/workgroup (compile time only)
; SGPRBlocks: 6
; VGPRBlocks: 30
; NumSGPRsForWavesPerEU: 52
; NumVGPRsForWavesPerEU: 248
; AccumOffset: 248
; Occupancy: 2
; WaveLimiterHint : 1
; COMPUTE_PGM_RSRC2:SCRATCH_EN: 0
; COMPUTE_PGM_RSRC2:USER_SGPR: 2
; COMPUTE_PGM_RSRC2:TRAP_HANDLER: 0
; COMPUTE_PGM_RSRC2:TGID_X_EN: 1
; COMPUTE_PGM_RSRC2:TGID_Y_EN: 0
; COMPUTE_PGM_RSRC2:TGID_Z_EN: 0
; COMPUTE_PGM_RSRC2:TIDIG_COMP_CNT: 0
; COMPUTE_PGM_RSRC3_GFX90A:ACCUM_OFFSET: 61
; COMPUTE_PGM_RSRC3_GFX90A:TG_SPLIT: 0
	.text
	.p2alignl 6, 3212836864
	.fill 256, 4, 3212836864
	.type	__hip_cuid_c90975110f1c4370,@object ; @__hip_cuid_c90975110f1c4370
	.section	.bss,"aw",@nobits
	.globl	__hip_cuid_c90975110f1c4370
__hip_cuid_c90975110f1c4370:
	.byte	0                               ; 0x0
	.size	__hip_cuid_c90975110f1c4370, 1

	.ident	"AMD clang version 19.0.0git (https://github.com/RadeonOpenCompute/llvm-project roc-6.4.0 25133 c7fe45cf4b819c5991fe208aaa96edf142730f1d)"
	.section	".note.GNU-stack","",@progbits
	.addrsig
	.addrsig_sym __hip_cuid_c90975110f1c4370
	.amdgpu_metadata
---
amdhsa.kernels:
  - .agpr_count:     0
    .args:
      - .actual_access:  read_only
        .address_space:  global
        .offset:         0
        .size:           8
        .value_kind:     global_buffer
      - .actual_access:  read_only
        .address_space:  global
        .offset:         8
        .size:           8
        .value_kind:     global_buffer
      - .actual_access:  read_only
        .address_space:  global
        .offset:         16
        .size:           8
        .value_kind:     global_buffer
      - .actual_access:  read_only
        .address_space:  global
        .offset:         24
        .size:           8
        .value_kind:     global_buffer
      - .actual_access:  read_only
        .address_space:  global
        .offset:         32
        .size:           8
        .value_kind:     global_buffer
      - .offset:         40
        .size:           8
        .value_kind:     by_value
      - .address_space:  global
        .offset:         48
        .size:           8
        .value_kind:     global_buffer
      - .address_space:  global
        .offset:         56
        .size:           8
        .value_kind:     global_buffer
      - .address_space:  global
        .offset:         64
        .size:           8
        .value_kind:     global_buffer
      - .address_space:  global
        .offset:         72
        .size:           8
        .value_kind:     global_buffer
      - .offset:         80
        .size:           4
        .value_kind:     by_value
      - .address_space:  global
        .offset:         88
        .size:           8
        .value_kind:     global_buffer
      - .address_space:  global
        .offset:         96
        .size:           8
        .value_kind:     global_buffer
    .group_segment_fixed_size: 11232
    .kernarg_segment_align: 8
    .kernarg_segment_size: 104
    .language:       OpenCL C
    .language_version:
      - 2
      - 0
    .max_flat_workgroup_size: 117
    .name:           bluestein_single_fwd_len1404_dim1_sp_op_CI_CI
    .private_segment_fixed_size: 0
    .sgpr_count:     52
    .sgpr_spill_count: 0
    .symbol:         bluestein_single_fwd_len1404_dim1_sp_op_CI_CI.kd
    .uniform_work_group_size: 1
    .uses_dynamic_stack: false
    .vgpr_count:     248
    .vgpr_spill_count: 0
    .wavefront_size: 64
amdhsa.target:   amdgcn-amd-amdhsa--gfx950
amdhsa.version:
  - 1
  - 2
...

	.end_amdgpu_metadata
